;; amdgpu-corpus repo=ROCm/rocFFT kind=compiled arch=gfx1201 opt=O3
	.text
	.amdgcn_target "amdgcn-amd-amdhsa--gfx1201"
	.amdhsa_code_object_version 6
	.protected	bluestein_single_fwd_len784_dim1_half_op_CI_CI ; -- Begin function bluestein_single_fwd_len784_dim1_half_op_CI_CI
	.globl	bluestein_single_fwd_len784_dim1_half_op_CI_CI
	.p2align	8
	.type	bluestein_single_fwd_len784_dim1_half_op_CI_CI,@function
bluestein_single_fwd_len784_dim1_half_op_CI_CI: ; @bluestein_single_fwd_len784_dim1_half_op_CI_CI
; %bb.0:
	s_load_b128 s[16:19], s[0:1], 0x28
	v_mul_u32_u24_e32 v1, 0x493, v0
	s_mov_b32 s2, exec_lo
	v_mov_b32_e32 v21, 0
	s_delay_alu instid0(VALU_DEP_2) | instskip(NEXT) | instid1(VALU_DEP_1)
	v_lshrrev_b32_e32 v1, 16, v1
	v_add_nc_u32_e32 v20, ttmp9, v1
	s_wait_kmcnt 0x0
	s_delay_alu instid0(VALU_DEP_1)
	v_cmpx_gt_u64_e64 s[16:17], v[20:21]
	s_cbranch_execz .LBB0_2
; %bb.1:
	s_clause 0x1
	s_load_b128 s[4:7], s[0:1], 0x18
	s_load_b128 s[8:11], s[0:1], 0x0
	v_mul_lo_u16 v1, v1, 56
	s_movk_i32 s2, 0xfac0
	s_mov_b32 s3, -1
	s_load_b64 s[0:1], s[0:1], 0x38
	s_mov_b32 s50, 0xa72f0539
	v_sub_nc_u16 v0, v0, v1
	s_mov_b32 s51, 0x3f54e5e0
	s_delay_alu instid0(VALU_DEP_1) | instskip(NEXT) | instid1(VALU_DEP_1)
	v_and_b32_e32 v75, 0xffff, v0
	v_or_b32_e32 v76, 0x1c0, v75
	s_wait_kmcnt 0x0
	s_load_b128 s[12:15], s[4:5], 0x0
	s_wait_kmcnt 0x0
	v_mad_co_u64_u32 v[0:1], null, s14, v20, 0
	v_mad_co_u64_u32 v[2:3], null, s12, v75, 0
	s_mul_u64 s[4:5], s[12:13], 0x620
	s_delay_alu instid0(VALU_DEP_1) | instskip(SKIP_1) | instid1(VALU_DEP_1)
	v_mad_co_u64_u32 v[4:5], null, s15, v20, v[1:2]
	s_mul_u64 s[14:15], s[12:13], s[2:3]
	v_mad_co_u64_u32 v[5:6], null, s13, v75, v[3:4]
	v_mad_co_u64_u32 v[6:7], null, s12, v76, 0
	v_mov_b32_e32 v1, v4
	s_delay_alu instid0(VALU_DEP_2) | instskip(SKIP_1) | instid1(VALU_DEP_3)
	v_dual_mov_b32 v3, v5 :: v_dual_mov_b32 v4, v7
	v_lshlrev_b32_e32 v72, 2, v75
	v_lshlrev_b64_e32 v[0:1], 2, v[0:1]
	s_delay_alu instid0(VALU_DEP_3)
	v_lshlrev_b64_e32 v[2:3], 2, v[2:3]
	s_clause 0x9
	global_load_b32 v50, v72, s[8:9]
	global_load_b32 v49, v72, s[8:9] offset:224
	global_load_b32 v48, v72, s[8:9] offset:448
	;; [unrolled: 1-line block ×9, first 2 shown]
	v_add_co_u32 v12, vcc_lo, s18, v0
	v_add_co_ci_u32_e32 v13, vcc_lo, s19, v1, vcc_lo
	v_mad_co_u64_u32 v[0:1], null, s13, v76, v[4:5]
	s_delay_alu instid0(VALU_DEP_3) | instskip(SKIP_1) | instid1(VALU_DEP_3)
	v_add_co_u32 v1, vcc_lo, v12, v2
	s_wait_alu 0xfffd
	v_add_co_ci_u32_e32 v2, vcc_lo, v13, v3, vcc_lo
	v_add_nc_u32_e32 v74, 0x400, v72
	s_delay_alu instid0(VALU_DEP_3) | instskip(SKIP_1) | instid1(VALU_DEP_3)
	v_add_co_u32 v3, vcc_lo, v1, s4
	s_wait_alu 0xfffd
	v_add_co_ci_u32_e32 v4, vcc_lo, s5, v2, vcc_lo
	v_mov_b32_e32 v7, v0
	s_wait_alu 0xfffe
	v_add_co_u32 v8, vcc_lo, v3, s14
	s_wait_alu 0xfffd
	v_add_co_ci_u32_e32 v9, vcc_lo, s15, v4, vcc_lo
	v_lshlrev_b64_e32 v[5:6], 2, v[6:7]
	s_clause 0x1
	global_load_b32 v55, v72, s[8:9] offset:2464
	global_load_b32 v52, v72, s[8:9] offset:2688
	v_add_nc_u32_e32 v73, 0x200, v72
	v_mad_co_u64_u32 v[10:11], null, 0xe0, s12, v[8:9]
	v_and_b32_e32 v23, 1, v75
	v_add_co_u32 v5, vcc_lo, v12, v5
	s_wait_alu 0xfffd
	v_add_co_ci_u32_e32 v6, vcc_lo, v13, v6, vcc_lo
	s_clause 0x2
	global_load_b32 v7, v[1:2], off
	global_load_b32 v4, v[3:4], off
	;; [unrolled: 1-line block ×3, first 2 shown]
	v_mov_b32_e32 v0, v11
	s_clause 0x1
	global_load_b32 v57, v72, s[8:9] offset:1344
	global_load_b32 v43, v72, s[8:9] offset:2912
	v_lshlrev_b32_e32 v113, 3, v75
	v_lshlrev_b32_e32 v24, 2, v23
	v_mad_co_u64_u32 v[0:1], null, 0xe0, s13, v[0:1]
	s_delay_alu instid0(VALU_DEP_1) | instskip(SKIP_2) | instid1(VALU_DEP_2)
	v_dual_mov_b32 v11, v0 :: v_dual_add_nc_u32 v70, 0x800, v72
	v_add_co_u32 v0, vcc_lo, v10, s4
	s_wait_alu 0xfffd
	v_add_co_ci_u32_e32 v1, vcc_lo, s5, v11, vcc_lo
	s_clause 0x2
	global_load_b32 v6, v[10:11], off
	global_load_b32 v10, v[0:1], off
	;; [unrolled: 1-line block ×3, first 2 shown]
	v_add_co_u32 v0, vcc_lo, v0, s14
	s_wait_alu 0xfffd
	v_add_co_ci_u32_e32 v1, vcc_lo, s15, v1, vcc_lo
	s_delay_alu instid0(VALU_DEP_2) | instskip(SKIP_1) | instid1(VALU_DEP_2)
	v_add_co_u32 v2, vcc_lo, v0, s4
	s_wait_alu 0xfffd
	v_add_co_ci_u32_e32 v3, vcc_lo, s5, v1, vcc_lo
	global_load_b32 v9, v[0:1], off
	global_load_b32 v11, v[2:3], off
	v_add_co_u32 v0, vcc_lo, v2, s14
	s_wait_alu 0xfffd
	v_add_co_ci_u32_e32 v1, vcc_lo, s15, v3, vcc_lo
	s_delay_alu instid0(VALU_DEP_2) | instskip(SKIP_1) | instid1(VALU_DEP_2)
	v_add_co_u32 v2, vcc_lo, v0, s4
	s_wait_alu 0xfffd
	v_add_co_ci_u32_e32 v3, vcc_lo, s5, v1, vcc_lo
	global_load_b32 v12, v[0:1], off
	v_add_co_u32 v0, vcc_lo, v2, s14
	s_wait_alu 0xfffd
	v_add_co_ci_u32_e32 v1, vcc_lo, s15, v3, vcc_lo
	global_load_b32 v13, v[2:3], off
	;; [unrolled: 4-line block ×5, first 2 shown]
	global_load_b32 v1, v[2:3], off
	s_load_b128 s[4:7], s[6:7], 0x0
	s_wait_kmcnt 0x0
	s_mul_u64 s[46:47], s[4:5], 0x620
	s_mul_u64 s[48:49], s[4:5], s[2:3]
	s_wait_loadcnt 0x1b
	v_lshrrev_b32_e32 v68, 16, v50
	s_wait_loadcnt 0x1a
	v_lshrrev_b32_e32 v58, 16, v49
	;; [unrolled: 2-line block ×6, first 2 shown]
	v_lshrrev_b32_e32 v69, 16, v51
	s_wait_loadcnt 0x13
	v_lshrrev_b32_e32 v61, 16, v54
	s_wait_loadcnt 0x12
	v_lshrrev_b32_e32 v63, 16, v53
	v_lshrrev_b32_e32 v67, 16, v45
	s_wait_loadcnt 0x11
	v_lshrrev_b32_e32 v65, 16, v55
	s_wait_loadcnt 0x10
	;; [unrolled: 2-line block ×4, first 2 shown]
	v_lshrrev_b32_e32 v3, 16, v4
	v_mul_f16_e32 v16, v68, v7
	s_wait_loadcnt 0xd
	v_lshrrev_b32_e32 v17, 16, v5
	v_mul_f16_e32 v19, v69, v4
	v_mul_f16_e32 v18, v59, v5
	;; [unrolled: 1-line block ×4, first 2 shown]
	v_fma_f16 v2, v50, v2, -v16
	v_mul_f16_e32 v16, v59, v17
	v_fma_f16 v3, v51, v3, -v19
	v_fmac_f16_e32 v21, v51, v4
	v_fma_f16 v4, v56, v17, -v18
	v_fmac_f16_e32 v22, v50, v7
	v_fmac_f16_e32 v16, v56, v5
	s_wait_loadcnt 0xc
	v_lshrrev_b32_e32 v71, 16, v57
	v_pack_b32_f16 v3, v21, v3
	s_wait_loadcnt 0xb
	v_lshrrev_b32_e32 v44, 16, v43
	v_pack_b32_f16 v2, v22, v2
	v_pack_b32_f16 v4, v16, v4
	ds_store_b32 v72, v3 offset:1568
	s_wait_loadcnt 0xa
	v_lshrrev_b32_e32 v5, 16, v6
	v_mul_f16_e32 v3, v60, v6
	s_wait_loadcnt 0x8
	v_lshrrev_b32_e32 v7, 16, v8
	v_mul_f16_e32 v16, v58, v8
	v_lshrrev_b32_e32 v18, 16, v10
	v_mul_f16_e32 v17, v60, v5
	v_fma_f16 v3, v48, v5, -v3
	v_mul_f16_e32 v5, v58, v7
	v_fma_f16 v7, v49, v7, -v16
	v_mul_f16_e32 v19, v61, v10
	v_fmac_f16_e32 v17, v48, v6
	v_mul_f16_e32 v6, v61, v18
	v_fmac_f16_e32 v5, v49, v8
	s_wait_loadcnt 0x7
	v_lshrrev_b32_e32 v16, 16, v9
	v_fma_f16 v18, v54, v18, -v19
	v_pack_b32_f16 v3, v17, v3
	v_fmac_f16_e32 v6, v54, v10
	s_wait_loadcnt 0x6
	v_lshrrev_b32_e32 v10, 16, v11
	v_mul_f16_e32 v8, v62, v16
	v_mul_f16_e32 v17, v63, v11
	;; [unrolled: 1-line block ×3, first 2 shown]
	v_pack_b32_f16 v5, v5, v7
	v_mul_f16_e32 v7, v63, v10
	v_fmac_f16_e32 v8, v47, v9
	v_fma_f16 v9, v53, v10, -v17
	s_wait_loadcnt 0x5
	v_lshrrev_b32_e32 v10, 16, v12
	v_pack_b32_f16 v6, v6, v18
	v_fma_f16 v16, v47, v16, -v19
	v_mul_f16_e32 v17, v64, v12
	ds_store_2addr_b32 v72, v2, v5 offset1:56
	ds_store_2addr_b32 v74, v4, v6 offset0:192 offset1:248
	v_fmac_f16_e32 v7, v53, v11
	v_mul_f16_e32 v4, v64, v10
	v_pack_b32_f16 v2, v8, v16
	s_wait_loadcnt 0x4
	v_lshrrev_b32_e32 v6, 16, v13
	v_mul_f16_e32 v8, v65, v13
	v_fma_f16 v5, v46, v10, -v17
	v_pack_b32_f16 v7, v7, v9
	v_fmac_f16_e32 v4, v46, v12
	s_wait_loadcnt 0x3
	v_lshrrev_b32_e32 v9, 16, v14
	v_mul_f16_e32 v10, v65, v6
	v_fma_f16 v6, v55, v6, -v8
	v_mul_f16_e32 v8, v67, v14
	v_pack_b32_f16 v4, v4, v5
	v_mul_f16_e32 v5, v67, v9
	s_wait_loadcnt 0x2
	v_lshrrev_b32_e32 v11, 16, v15
	s_wait_loadcnt 0x1
	v_lshrrev_b32_e32 v12, 16, v0
	v_fma_f16 v8, v45, v9, -v8
	v_mul_f16_e32 v9, v66, v15
	v_fmac_f16_e32 v5, v45, v14
	s_wait_loadcnt 0x0
	v_lshrrev_b32_e32 v14, 16, v1
	v_fmac_f16_e32 v10, v55, v13
	v_mul_f16_e32 v13, v66, v11
	v_fma_f16 v9, v52, v11, -v9
	v_mul_f16_e32 v11, v71, v0
	v_mul_f16_e32 v16, v71, v12
	;; [unrolled: 1-line block ×4, first 2 shown]
	v_fmac_f16_e32 v13, v52, v15
	v_fma_f16 v11, v57, v12, -v11
	v_fmac_f16_e32 v16, v57, v0
	v_fma_f16 v0, v43, v14, -v17
	v_fmac_f16_e32 v18, v43, v1
	v_pack_b32_f16 v1, v10, v6
	v_pack_b32_f16 v5, v5, v8
	;; [unrolled: 1-line block ×5, first 2 shown]
	ds_store_2addr_b32 v72, v3, v2 offset0:112 offset1:168
	ds_store_2addr_b32 v70, v7, v1 offset0:48 offset1:104
	ds_store_2addr_b32 v73, v4, v5 offset0:96 offset1:152
	ds_store_b32 v72, v8 offset:1344
	ds_store_2addr_b32 v70, v6, v0 offset0:160 offset1:216
	global_wb scope:SCOPE_SE
	s_wait_dscnt 0x0
	s_barrier_signal -1
	s_barrier_wait -1
	global_inv scope:SCOPE_SE
	ds_load_2addr_b32 v[1:2], v72 offset1:56
	ds_load_2addr_b32 v[3:4], v74 offset0:80 offset1:136
	ds_load_2addr_b32 v[5:6], v74 offset0:192 offset1:248
	;; [unrolled: 1-line block ×6, first 2 shown]
	v_lshlrev_b32_e32 v0, 1, v75
	global_wb scope:SCOPE_SE
	s_wait_dscnt 0x0
	s_barrier_signal -1
	s_barrier_wait -1
	global_inv scope:SCOPE_SE
	v_lshlrev_b32_e32 v111, 2, v0
	s_delay_alu instid0(VALU_DEP_1)
	v_add_nc_u32_e32 v115, 0x400, v111
	v_pk_add_f16 v15, v1, v4 neg_lo:[0,1] neg_hi:[0,1]
	v_pk_add_f16 v5, v2, v5 neg_lo:[0,1] neg_hi:[0,1]
	;; [unrolled: 1-line block ×7, first 2 shown]
	v_pk_fma_f16 v14, v1, 2.0, v15 op_sel_hi:[1,0,1] neg_lo:[0,0,1] neg_hi:[0,0,1]
	v_pk_fma_f16 v4, v2, 2.0, v5 op_sel_hi:[1,0,1] neg_lo:[0,0,1] neg_hi:[0,0,1]
	;; [unrolled: 1-line block ×7, first 2 shown]
	ds_store_2addr_b64 v113, v[14:15], v[4:5] offset1:56
	ds_store_2addr_b64 v111, v[16:17], v[8:9] offset0:112 offset1:168
	ds_store_2addr_b64 v115, v[18:19], v[12:13] offset0:96 offset1:152
	ds_store_b64 v111, v[21:22] offset:2688
	global_wb scope:SCOPE_SE
	s_wait_dscnt 0x0
	s_barrier_signal -1
	s_barrier_wait -1
	global_inv scope:SCOPE_SE
	global_load_b32 v90, v24, s[10:11]
	v_add_nc_u32_e32 v2, 56, v75
	v_and_or_b32 v9, 0x7c, v0, v23
	v_add_nc_u32_e32 v4, 0xe0, v0
	v_add_nc_u32_e32 v5, 0x150, v0
	;; [unrolled: 1-line block ×3, first 2 shown]
	v_lshlrev_b32_e32 v3, 1, v2
	v_add_nc_u32_e32 v7, 0x230, v0
	v_add_nc_u32_e32 v8, 0x2a0, v0
	v_lshlrev_b32_e32 v92, 2, v9
	ds_load_2addr_b32 v[9:10], v72 offset1:56
	ds_load_2addr_b32 v[11:12], v74 offset0:80 offset1:136
	v_and_or_b32 v24, 0xfc, v3, v23
	ds_load_2addr_b32 v[13:14], v74 offset0:192 offset1:248
	ds_load_2addr_b32 v[15:16], v72 offset0:112 offset1:168
	;; [unrolled: 1-line block ×4, first 2 shown]
	v_and_or_b32 v25, 0x1fc, v4, v23
	v_and_or_b32 v26, 0x1fc, v5, v23
	;; [unrolled: 1-line block ×5, first 2 shown]
	v_lshlrev_b32_e32 v93, 2, v24
	ds_load_2addr_b32 v[23:24], v70 offset0:160 offset1:216
	v_lshlrev_b32_e32 v95, 2, v26
	v_lshlrev_b32_e32 v97, 2, v28
	;; [unrolled: 1-line block ×5, first 2 shown]
	v_and_b32_e32 v1, 3, v75
	global_wb scope:SCOPE_SE
	s_wait_loadcnt_dscnt 0x0
	s_barrier_signal -1
	v_lshrrev_b32_e32 v25, 16, v9
	v_lshrrev_b32_e32 v26, 16, v12
	;; [unrolled: 1-line block ×14, first 2 shown]
	v_lshlrev_b32_e32 v19, 2, v1
	s_barrier_wait -1
	global_inv scope:SCOPE_SE
	v_lshrrev_b32_e32 v100, 16, v90
	s_delay_alu instid0(VALU_DEP_1)
	v_mul_f16_e32 v39, v12, v100
	v_mul_f16_e32 v82, v26, v100
	;; [unrolled: 1-line block ×14, first 2 shown]
	v_fmac_f16_e32 v39, v26, v90
	v_fma_f16 v12, v12, v90, -v82
	v_fma_f16 v13, v13, v90, -v40
	v_fmac_f16_e32 v42, v28, v90
	v_fma_f16 v14, v14, v90, -v41
	v_fmac_f16_e32 v79, v30, v90
	;; [unrolled: 2-line block ×6, first 2 shown]
	v_sub_f16_e32 v12, v9, v12
	v_sub_f16_e32 v26, v25, v39
	v_sub_f16_e32 v13, v10, v13
	v_sub_f16_e32 v28, v27, v42
	v_sub_f16_e32 v14, v15, v14
	v_sub_f16_e32 v30, v29, v79
	v_sub_f16_e32 v17, v16, v17
	v_sub_f16_e32 v32, v31, v80
	v_sub_f16_e32 v18, v21, v18
	v_sub_f16_e32 v34, v33, v81
	v_sub_f16_e32 v23, v22, v23
	v_sub_f16_e32 v36, v35, v84
	v_sub_f16_e32 v24, v11, v24
	v_sub_f16_e32 v38, v37, v86
	v_fma_f16 v9, v9, 2.0, -v12
	v_fma_f16 v25, v25, 2.0, -v26
	;; [unrolled: 1-line block ×14, first 2 shown]
	v_pack_b32_f16 v12, v12, v26
	v_pack_b32_f16 v9, v9, v25
	;; [unrolled: 1-line block ×14, first 2 shown]
	ds_store_2addr_b32 v92, v9, v12 offset1:2
	ds_store_2addr_b32 v93, v10, v13 offset1:2
	;; [unrolled: 1-line block ×7, first 2 shown]
	global_wb scope:SCOPE_SE
	s_wait_dscnt 0x0
	s_barrier_signal -1
	s_barrier_wait -1
	global_inv scope:SCOPE_SE
	global_load_b32 v91, v19, s[10:11] offset:8
	v_and_or_b32 v10, 0x78, v0, v1
	v_and_or_b32 v21, 0xf8, v3, v1
	;; [unrolled: 1-line block ×5, first 2 shown]
	v_lshlrev_b32_e32 v99, 2, v10
	ds_load_2addr_b32 v[10:11], v74 offset0:80 offset1:136
	ds_load_2addr_b32 v[12:13], v74 offset0:192 offset1:248
	;; [unrolled: 1-line block ×4, first 2 shown]
	ds_load_2addr_b32 v[18:19], v72 offset1:56
	v_lshlrev_b32_e32 v101, 2, v21
	ds_load_2addr_b32 v[21:22], v72 offset0:112 offset1:168
	v_lshlrev_b32_e32 v102, 2, v23
	v_lshlrev_b32_e32 v103, 2, v24
	ds_load_2addr_b32 v[23:24], v73 offset0:96 offset1:152
	v_and_or_b32 v27, 0x2f8, v7, v1
	v_and_or_b32 v1, 0x3f8, v8, v1
	v_lshlrev_b32_e32 v104, 2, v26
	v_and_b32_e32 v9, 7, v75
	global_wb scope:SCOPE_SE
	s_wait_loadcnt_dscnt 0x0
	v_lshlrev_b32_e32 v105, 2, v27
	v_lshlrev_b32_e32 v106, 2, v1
	s_barrier_signal -1
	v_lshlrev_b32_e32 v25, 2, v9
	s_barrier_wait -1
	v_lshrrev_b32_e32 v1, 16, v11
	v_lshrrev_b32_e32 v26, 16, v12
	;; [unrolled: 1-line block ×14, first 2 shown]
	global_inv scope:SCOPE_SE
	v_lshrrev_b32_e32 v109, 16, v91
	s_delay_alu instid0(VALU_DEP_1)
	v_mul_f16_e32 v39, v11, v109
	v_mul_f16_e32 v40, v26, v109
	;; [unrolled: 1-line block ×14, first 2 shown]
	v_fma_f16 v12, v12, v91, -v40
	v_fma_f16 v13, v13, v91, -v42
	v_fma_f16 v14, v14, v91, -v78
	v_fma_f16 v15, v15, v91, -v80
	v_fma_f16 v16, v16, v91, -v81
	v_fma_f16 v17, v17, v91, -v82
	v_fmac_f16_e32 v39, v1, v91
	v_fma_f16 v1, v11, v91, -v86
	v_fmac_f16_e32 v41, v26, v91
	v_fmac_f16_e32 v77, v27, v91
	;; [unrolled: 1-line block ×6, first 2 shown]
	v_sub_f16_e32 v1, v18, v1
	v_sub_f16_e32 v11, v19, v12
	;; [unrolled: 1-line block ×14, first 2 shown]
	v_fma_f16 v18, v18, 2.0, -v1
	v_fma_f16 v32, v32, 2.0, -v17
	;; [unrolled: 1-line block ×3, first 2 shown]
	v_pack_b32_f16 v1, v1, v17
	v_fma_f16 v17, v33, 2.0, -v26
	v_fma_f16 v21, v21, 2.0, -v12
	v_pack_b32_f16 v11, v11, v26
	v_fma_f16 v26, v34, 2.0, -v27
	v_fma_f16 v22, v22, 2.0, -v13
	;; [unrolled: 3-line block ×3, first 2 shown]
	v_fma_f16 v33, v36, 2.0, -v29
	v_fma_f16 v24, v24, 2.0, -v15
	;; [unrolled: 1-line block ×5, first 2 shown]
	v_pack_b32_f16 v18, v18, v32
	v_pack_b32_f16 v17, v19, v17
	;; [unrolled: 1-line block ×11, first 2 shown]
	ds_store_2addr_b32 v99, v18, v1 offset1:4
	ds_store_2addr_b32 v101, v17, v11 offset1:4
	;; [unrolled: 1-line block ×7, first 2 shown]
	global_wb scope:SCOPE_SE
	s_wait_dscnt 0x0
	s_barrier_signal -1
	s_barrier_wait -1
	global_inv scope:SCOPE_SE
	global_load_b32 v89, v25, s[10:11] offset:24
	v_and_or_b32 v10, 0x70, v0, v9
	v_and_or_b32 v13, 0xf0, v3, v9
	;; [unrolled: 1-line block ×7, first 2 shown]
	ds_load_2addr_b32 v[3:4], v74 offset0:192 offset1:248
	v_lshlrev_b32_e32 v125, 2, v10
	ds_load_2addr_b32 v[5:6], v70 offset0:48 offset1:104
	ds_load_2addr_b32 v[7:8], v70 offset0:160 offset1:216
	;; [unrolled: 1-line block ×3, first 2 shown]
	ds_load_2addr_b32 v[11:12], v72 offset1:56
	v_lshlrev_b32_e32 v126, 2, v13
	ds_load_2addr_b32 v[13:14], v72 offset0:112 offset1:168
	v_lshlrev_b32_e32 v128, 2, v21
	ds_load_2addr_b32 v[21:22], v73 offset0:96 offset1:152
	v_lshlrev_b32_e32 v127, 2, v15
	v_lshlrev_b32_e32 v129, 2, v23
	;; [unrolled: 1-line block ×4, first 2 shown]
	v_and_b32_e32 v16, 15, v75
	v_and_b32_e32 v19, 15, v2
	global_wb scope:SCOPE_SE
	s_wait_loadcnt_dscnt 0x0
	s_barrier_signal -1
	s_barrier_wait -1
	v_mad_co_u64_u32 v[0:1], null, v16, 24, s[10:11]
	v_mad_co_u64_u32 v[17:18], null, v19, 24, s[10:11]
	v_lshrrev_b32_e32 v15, 16, v3
	v_lshrrev_b32_e32 v28, 16, v10
	;; [unrolled: 1-line block ×14, first 2 shown]
	global_inv scope:SCOPE_SE
	v_lshrrev_b32_e32 v132, 16, v89
	s_delay_alu instid0(VALU_DEP_1)
	v_mul_f16_e64 v82, v10, v132
	v_mul_f16_e64 v83, v28, v132
	;; [unrolled: 1-line block ×14, first 2 shown]
	v_fmac_f16_e32 v82, v28, v89
	v_fma_f16 v10, v10, v89, -v83
	v_fma_f16 v3, v3, v89, -v36
	v_fmac_f16_e32 v37, v15, v89
	v_fma_f16 v4, v4, v89, -v38
	v_fmac_f16_e32 v39, v23, v89
	;; [unrolled: 2-line block ×3, first 2 shown]
	v_fma_f16 v6, v6, v89, -v42
	v_fma_f16 v7, v7, v89, -v77
	;; [unrolled: 1-line block ×3, first 2 shown]
	v_fmac_f16_e32 v79, v25, v89
	v_fmac_f16_e32 v80, v26, v89
	;; [unrolled: 1-line block ×3, first 2 shown]
	v_sub_f16_e32 v10, v11, v10
	v_sub_f16_e32 v15, v29, v82
	;; [unrolled: 1-line block ×14, first 2 shown]
	v_fma_f16 v11, v11, 2.0, -v10
	v_fma_f16 v29, v29, 2.0, -v15
	;; [unrolled: 1-line block ×3, first 2 shown]
	v_pack_b32_f16 v10, v10, v15
	v_fma_f16 v15, v30, 2.0, -v23
	v_fma_f16 v13, v13, 2.0, -v4
	v_pack_b32_f16 v3, v3, v23
	v_fma_f16 v23, v31, 2.0, -v24
	v_fma_f16 v14, v14, 2.0, -v5
	;; [unrolled: 3-line block ×3, first 2 shown]
	v_fma_f16 v22, v22, 2.0, -v7
	v_fma_f16 v9, v9, 2.0, -v8
	v_pack_b32_f16 v5, v5, v25
	v_fma_f16 v25, v33, 2.0, -v26
	v_fma_f16 v30, v34, 2.0, -v27
	v_pack_b32_f16 v6, v6, v26
	v_fma_f16 v26, v35, 2.0, -v28
	v_pack_b32_f16 v11, v11, v29
	v_pack_b32_f16 v12, v12, v15
	;; [unrolled: 1-line block ×9, first 2 shown]
	ds_store_2addr_b32 v125, v11, v10 offset1:8
	ds_store_2addr_b32 v126, v12, v3 offset1:8
	ds_store_2addr_b32 v127, v13, v4 offset1:8
	ds_store_2addr_b32 v128, v14, v5 offset1:8
	ds_store_2addr_b32 v129, v15, v6 offset1:8
	ds_store_2addr_b32 v130, v21, v7 offset1:8
	ds_store_2addr_b32 v131, v9, v8 offset1:8
	global_wb scope:SCOPE_SE
	s_wait_dscnt 0x0
	s_barrier_signal -1
	s_barrier_wait -1
	global_inv scope:SCOPE_SE
	s_clause 0x3
	global_load_b128 v[12:15], v[0:1], off offset:56
	global_load_b64 v[21:22], v[0:1], off offset:72
	global_load_b128 v[8:11], v[17:18], off offset:56
	global_load_b64 v[23:24], v[17:18], off offset:72
	v_lshrrev_b32_e32 v0, 4, v75
	v_lshrrev_b32_e32 v1, 4, v2
	s_delay_alu instid0(VALU_DEP_2) | instskip(NEXT) | instid1(VALU_DEP_2)
	v_mul_u32_u24_e32 v29, 0x70, v0
	v_mul_u32_u24_e32 v30, 0x70, v1
	ds_load_2addr_b32 v[0:1], v72 offset0:112 offset1:168
	ds_load_2addr_b32 v[2:3], v70 offset0:160 offset1:216
	;; [unrolled: 1-line block ×6, first 2 shown]
	ds_load_2addr_b32 v[27:28], v72 offset1:56
	global_wb scope:SCOPE_SE
	s_wait_loadcnt_dscnt 0x0
	s_barrier_signal -1
	v_or_b32_e32 v16, v29, v16
	v_or_b32_e32 v19, v30, v19
	v_mad_co_u64_u32 v[29:30], null, v75, 24, s[10:11]
	s_barrier_wait -1
	s_delay_alu instid0(VALU_DEP_3) | instskip(NEXT) | instid1(VALU_DEP_3)
	v_lshlrev_b32_e32 v108, 2, v16
	v_lshlrev_b32_e32 v107, 2, v19
	global_inv scope:SCOPE_SE
	v_lshrrev_b32_e32 v16, 16, v0
	v_lshrrev_b32_e32 v19, 16, v2
	;; [unrolled: 1-line block ×26, first 2 shown]
	v_mul_f16_e32 v77, v16, v122
	v_mul_f16_e32 v78, v19, v110
	;; [unrolled: 1-line block ×6, first 2 shown]
	v_mul_f16_e64 v139, v6, v112
	v_mul_f16_e64 v140, v32, v112
	v_mul_f16_e32 v83, v17, v124
	v_mul_f16_e32 v84, v36, v118
	;; [unrolled: 1-line block ×6, first 2 shown]
	v_mul_f16_e64 v134, v5, v119
	v_mul_f16_e64 v137, v25, v121
	;; [unrolled: 1-line block ×8, first 2 shown]
	v_fma_f16 v0, v0, v12, -v77
	v_fma_f16 v4, v4, v13, -v82
	v_fmac_f16_e32 v79, v16, v12
	v_fmac_f16_e32 v80, v19, v22
	;; [unrolled: 1-line block ×3, first 2 shown]
	v_fmac_f16_e64 v139, v32, v21
	v_fma_f16 v2, v2, v22, -v78
	v_fma_f16 v6, v6, v21, -v140
	v_mul_f16_e64 v136, v18, v120
	v_mul_f16_e64 v138, v26, v117
	v_fma_f16 v1, v1, v8, -v84
	v_fma_f16 v5, v5, v9, -v87
	;; [unrolled: 1-line block ×4, first 2 shown]
	v_fmac_f16_e32 v83, v33, v14
	v_fmac_f16_e64 v137, v34, v15
	v_fma_f16 v3, v3, v24, -v141
	v_fma_f16 v7, v7, v23, -v143
	v_fmac_f16_e32 v88, v36, v8
	v_fmac_f16_e64 v134, v37, v9
	v_fmac_f16_e64 v142, v40, v24
	;; [unrolled: 1-line block ×3, first 2 shown]
	v_fma_f16 v18, v18, v10, -v133
	v_fma_f16 v26, v26, v11, -v135
	v_add_f16_e32 v16, v0, v2
	v_sub_f16_e32 v0, v0, v2
	v_add_f16_e32 v2, v79, v80
	v_add_f16_e32 v31, v4, v6
	v_sub_f16_e32 v4, v4, v6
	v_add_f16_e64 v6, v81, v139
	v_fmac_f16_e64 v136, v38, v10
	v_fmac_f16_e64 v138, v39, v11
	v_sub_f16_e32 v19, v79, v80
	v_sub_f16_e64 v32, v81, v139
	v_add_f16_e32 v33, v17, v25
	v_sub_f16_e32 v17, v25, v17
	v_add_f16_e64 v25, v83, v137
	v_sub_f16_e64 v34, v137, v83
	v_add_f16_e32 v36, v1, v3
	v_sub_f16_e32 v1, v1, v3
	v_add_f16_e64 v3, v88, v142
	v_add_f16_e32 v38, v5, v7
	v_sub_f16_e32 v5, v5, v7
	v_add_f16_e64 v7, v134, v144
	v_add_f16_e32 v40, v18, v26
	v_sub_f16_e32 v18, v26, v18
	v_add_f16_e32 v77, v31, v16
	v_add_f16_e32 v78, v6, v2
	v_sub_f16_e64 v37, v88, v142
	v_sub_f16_e64 v39, v134, v144
	v_add_f16_e64 v26, v136, v138
	v_sub_f16_e64 v41, v138, v136
	v_sub_f16_e32 v79, v16, v33
	v_sub_f16_e32 v80, v33, v31
	;; [unrolled: 1-line block ×4, first 2 shown]
	v_add_f16_e32 v83, v17, v4
	v_sub_f16_e32 v84, v17, v4
	v_add_f16_e32 v85, v34, v32
	v_sub_f16_e32 v86, v34, v32
	v_sub_f16_e32 v16, v31, v16
	;; [unrolled: 1-line block ×5, first 2 shown]
	v_add_f16_e32 v31, v38, v36
	v_add_f16_e32 v32, v7, v3
	v_add_f16_e64 v133, v18, v5
	v_sub_f16_e64 v134, v18, v5
	v_sub_f16_e32 v5, v5, v1
	v_add_f16_e32 v33, v33, v77
	v_add_f16_e32 v25, v25, v78
	v_sub_f16_e32 v17, v0, v17
	v_sub_f16_e32 v34, v19, v34
	;; [unrolled: 1-line block ×8, first 2 shown]
	v_add_f16_e64 v135, v41, v39
	v_sub_f16_e64 v136, v41, v39
	v_sub_f16_e32 v39, v39, v37
	v_add_f16_e32 v0, v83, v0
	v_add_f16_e32 v31, v40, v31
	v_mul_f16_e32 v40, 0xb846, v84
	v_mul_f16_e32 v77, 0x3a52, v79
	v_mul_f16_e32 v78, 0x3a52, v81
	v_mul_f16_e32 v79, 0xb846, v86
	v_add_f16_e32 v26, v26, v32
	v_mul_f16_e32 v81, 0xbb00, v4
	v_mul_f16_e32 v83, 0xbb00, v6
	v_sub_f16_e32 v18, v1, v18
	v_add_f16_e32 v19, v85, v19
	v_mul_f16_e64 v85, 0xb846, v134
	v_mul_f16_e64 v134, 0xbb00, v5
	v_add_f16_e32 v27, v27, v33
	v_add_f16_e32 v35, v35, v25
	v_mul_f16_e32 v32, 0x2b26, v80
	v_mul_f16_e32 v84, 0x2b26, v82
	v_sub_f16_e32 v41, v37, v41
	v_add_f16_e64 v1, v133, v1
	v_add_f16_e64 v37, v135, v37
	v_mul_f16_e32 v86, 0x3a52, v87
	v_mul_f16_e32 v87, 0x3a52, v88
	v_mul_f16_e64 v88, 0xb846, v136
	v_mul_f16_e64 v133, 0x2b26, v38
	;; [unrolled: 1-line block ×4, first 2 shown]
	v_fma_f16 v4, v4, 0x3b00, -v40
	v_fmamk_f16 v40, v17, 0x3574, v40
	v_fmac_f16_e32 v81, 0xb574, v17
	v_fma_f16 v6, v6, 0x3b00, -v79
	v_fmamk_f16 v17, v34, 0x3574, v79
	v_fmac_f16_e32 v83, 0xb574, v34
	v_add_f16_e32 v28, v28, v31
	v_add_f16_e32 v42, v42, v26
	v_fmamk_f16 v80, v80, 0x2b26, v77
	v_fmamk_f16 v34, v82, 0x2b26, v78
	v_fma_f16 v5, v5, 0x3b00, -v85
	v_fmamk_f16 v79, v18, 0x3574, v85
	v_fmac_f16_e64 v134, 0xb574, v18
	v_fmamk_f16 v33, v33, 0xbcab, v27
	v_fmamk_f16 v25, v25, 0xbcab, v35
	v_fma_f16 v32, v16, 0x39e0, -v32
	v_fma_f16 v16, v16, 0xb9e0, -v77
	;; [unrolled: 1-line block ×4, first 2 shown]
	v_fmamk_f16 v38, v38, 0x2b26, v86
	v_fma_f16 v78, v36, 0x39e0, -v133
	v_fma_f16 v36, v36, 0xb9e0, -v86
	v_fmamk_f16 v18, v41, 0x3574, v88
	v_fmamk_f16 v7, v7, 0x2b26, v87
	v_fma_f16 v39, v39, 0x3b00, -v88
	v_fmac_f16_e64 v135, 0xb574, v41
	v_fma_f16 v41, v3, 0x39e0, -v136
	v_fma_f16 v3, v3, 0xb9e0, -v87
	v_fmac_f16_e32 v40, 0x370e, v0
	v_fmac_f16_e32 v17, 0x370e, v19
	;; [unrolled: 1-line block ×6, first 2 shown]
	v_fmamk_f16 v0, v31, 0xbcab, v28
	v_fmamk_f16 v19, v26, 0xbcab, v42
	v_pack_b32_f16 v26, v28, v42
	v_fmac_f16_e32 v79, 0x370e, v1
	v_fmac_f16_e32 v5, 0x370e, v1
	v_fmac_f16_e64 v134, 0x370e, v1
	v_add_f16_e32 v1, v80, v33
	v_add_f16_e32 v28, v34, v25
	;; [unrolled: 1-line block ×6, first 2 shown]
	v_fmac_f16_e32 v18, 0x370e, v37
	v_fmac_f16_e32 v39, 0x370e, v37
	v_fmac_f16_e64 v135, 0x370e, v37
	v_add_f16_e32 v32, v38, v0
	v_add_f16_e32 v7, v7, v19
	;; [unrolled: 1-line block ×6, first 2 shown]
	v_pack_b32_f16 v27, v27, v35
	v_add_f16_e32 v34, v17, v1
	v_sub_f16_e32 v35, v28, v40
	v_add_f16_e32 v36, v83, v16
	v_sub_f16_e32 v37, v2, v81
	v_sub_f16_e32 v38, v31, v6
	v_add_f16_e32 v41, v4, v25
	v_add_f16_e32 v6, v6, v31
	v_sub_f16_e32 v4, v25, v4
	v_sub_f16_e32 v16, v16, v83
	v_add_f16_e32 v2, v81, v2
	v_sub_f16_e32 v1, v1, v17
	v_add_f16_e32 v17, v40, v28
	v_add_f16_e32 v25, v18, v32
	v_sub_f16_e32 v28, v7, v79
	v_add_f16_e64 v31, v135, v0
	v_sub_f16_e64 v40, v3, v134
	v_sub_f16_e32 v42, v33, v39
	v_add_f16_e32 v77, v5, v19
	v_add_f16_e32 v33, v39, v33
	v_sub_f16_e32 v5, v19, v5
	v_sub_f16_e64 v0, v0, v135
	v_add_f16_e64 v3, v134, v3
	v_sub_f16_e32 v18, v32, v18
	v_add_f16_e32 v7, v79, v7
	v_pack_b32_f16 v19, v34, v35
	v_pack_b32_f16 v32, v36, v37
	;; [unrolled: 1-line block ×12, first 2 shown]
	ds_store_2addr_b32 v108, v27, v19 offset1:16
	ds_store_2addr_b32 v108, v32, v34 offset0:32 offset1:48
	ds_store_2addr_b32 v108, v4, v2 offset0:64 offset1:80
	ds_store_b32 v108, v1 offset:384
	ds_store_2addr_b32 v107, v26, v6 offset1:16
	ds_store_2addr_b32 v107, v16, v17 offset0:32 offset1:48
	ds_store_2addr_b32 v107, v5, v0 offset0:64 offset1:80
	ds_store_b32 v107, v3 offset:384
	global_wb scope:SCOPE_SE
	s_wait_dscnt 0x0
	s_barrier_signal -1
	s_barrier_wait -1
	global_inv scope:SCOPE_SE
	s_clause 0x3
	global_load_b128 v[0:3], v[29:30], off offset:440
	global_load_b128 v[4:7], v[29:30], off offset:1784
	global_load_b64 v[18:19], v[29:30], off offset:456
	global_load_b64 v[16:17], v[29:30], off offset:1800
	ds_load_2addr_b32 v[25:26], v72 offset0:112 offset1:168
	ds_load_2addr_b32 v[27:28], v73 offset0:96 offset1:152
	;; [unrolled: 1-line block ×6, first 2 shown]
	ds_load_2addr_b32 v[37:38], v72 offset1:56
	s_wait_dscnt 0x6
	v_lshrrev_b32_e32 v39, 16, v25
	v_lshrrev_b32_e32 v40, 16, v26
	s_wait_dscnt 0x5
	v_lshrrev_b32_e32 v41, 16, v27
	v_lshrrev_b32_e32 v42, 16, v28
	;; [unrolled: 3-line block ×7, first 2 shown]
	s_wait_loadcnt 0x3
	v_lshrrev_b32_e32 v83, 16, v0
	s_wait_loadcnt 0x2
	v_lshrrev_b32_e32 v77, 16, v4
	v_lshrrev_b32_e32 v84, 16, v1
	;; [unrolled: 1-line block ×7, first 2 shown]
	s_wait_loadcnt 0x1
	v_lshrrev_b32_e32 v87, 16, v18
	s_wait_loadcnt 0x0
	v_lshrrev_b32_e32 v81, 16, v16
	v_lshrrev_b32_e32 v88, 16, v19
	;; [unrolled: 1-line block ×3, first 2 shown]
	v_mul_f16_e64 v143, v39, v83
	v_mul_f16_e64 v144, v40, v77
	;; [unrolled: 1-line block ×20, first 2 shown]
	v_fma_f16 v25, v25, v0, -v143
	v_fma_f16 v26, v26, v4, -v144
	v_mul_f16_e64 v143, v139, v88
	v_mul_f16_e64 v144, v140, v82
	v_fma_f16 v27, v27, v1, -v147
	v_fma_f16 v28, v28, v5, -v148
	v_mul_f16_e64 v147, v35, v88
	v_mul_f16_e64 v148, v36, v82
	v_fma_f16 v29, v29, v2, -v151
	v_fma_f16 v30, v30, v6, -v152
	;; [unrolled: 1-line block ×8, first 2 shown]
	v_fmac_f16_e64 v145, v39, v0
	v_fmac_f16_e64 v149, v41, v1
	;; [unrolled: 1-line block ×12, first 2 shown]
	v_add_f16_e32 v39, v25, v35
	v_sub_f16_e32 v25, v25, v35
	v_add_f16_e64 v35, v145, v147
	v_add_f16_e32 v41, v27, v33
	v_sub_f16_e32 v27, v27, v33
	v_add_f16_e64 v33, v149, v161
	v_add_f16_e64 v133, v29, v31
	v_sub_f16_e32 v29, v31, v29
	v_add_f16_e64 v31, v153, v157
	v_add_f16_e64 v135, v26, v36
	v_sub_f16_e32 v26, v26, v36
	v_sub_f16_e64 v136, v146, v148
	v_add_f16_e64 v137, v28, v34
	v_sub_f16_e32 v28, v28, v34
	v_sub_f16_e64 v138, v150, v162
	;; [unrolled: 3-line block ×3, first 2 shown]
	v_sub_f16_e64 v40, v145, v147
	v_sub_f16_e64 v42, v149, v161
	;; [unrolled: 1-line block ×3, first 2 shown]
	v_add_f16_e64 v36, v146, v148
	v_add_f16_e64 v34, v150, v162
	;; [unrolled: 1-line block ×4, first 2 shown]
	v_sub_f16_e64 v144, v41, v39
	v_sub_f16_e64 v39, v39, v133
	;; [unrolled: 1-line block ×3, first 2 shown]
	v_add_f16_e64 v145, v33, v35
	v_sub_f16_e64 v146, v33, v35
	v_sub_f16_e32 v33, v31, v33
	v_add_f16_e64 v147, v29, v27
	v_sub_f16_e64 v148, v29, v27
	v_sub_f16_e32 v27, v27, v25
	;; [unrolled: 3-line block ×3, first 2 shown]
	v_add_f16_e64 v157, v140, v138
	v_sub_f16_e64 v158, v140, v138
	v_sub_f16_e64 v138, v138, v136
	v_sub_f16_e32 v35, v35, v31
	v_sub_f16_e32 v29, v25, v29
	v_add_f16_e64 v149, v134, v42
	v_sub_f16_e64 v150, v134, v42
	v_sub_f16_e32 v42, v42, v40
	v_add_f16_e64 v151, v137, v135
	v_add_f16_e64 v153, v34, v36
	v_sub_f16_e32 v30, v26, v30
	v_sub_f16_e64 v140, v136, v140
	v_add_f16_e64 v133, v133, v143
	v_add_f16_e64 v31, v31, v145
	;; [unrolled: 1-line block ×5, first 2 shown]
	v_mul_f16_e32 v39, 0x3a52, v39
	v_mul_f16_e64 v143, 0x2b26, v41
	v_mul_f16_e64 v145, 0x2b26, v33
	;; [unrolled: 1-line block ×8, first 2 shown]
	v_sub_f16_e64 v134, v40, v134
	v_sub_f16_e64 v152, v137, v135
	;; [unrolled: 1-line block ×5, first 2 shown]
	v_sub_f16_e32 v36, v36, v32
	v_sub_f16_e32 v34, v32, v34
	v_add_f16_e64 v40, v149, v40
	v_add_f16_e64 v139, v139, v151
	;; [unrolled: 1-line block ×3, first 2 shown]
	v_mul_f16_e32 v35, 0x3a52, v35
	v_mul_f16_e64 v149, 0xb846, v150
	v_mul_f16_e64 v150, 0xbb00, v42
	v_fmamk_f16 v41, v41, 0x2b26, v39
	v_fma_f16 v143, v144, 0x39e0, -v143
	v_fma_f16 v39, v144, 0xb9e0, -v39
	;; [unrolled: 1-line block ×4, first 2 shown]
	v_fma_f16 v145, 0x3574, v29, v147
	v_fmac_f16_e64 v148, 0xb574, v29
	v_add_f16_e64 v37, v37, v133
	v_fma_f16 v147, 0x3574, v30, v155
	v_fmac_f16_e64 v156, 0xb574, v30
	v_fma_f16 v30, v138, 0x3b00, -v157
	v_fma_f16 v138, 0x3574, v140, v157
	v_fmac_f16_e64 v158, 0xb574, v140
	v_add_f16_e64 v140, v141, v31
	v_mul_f16_e64 v135, 0x3a52, v135
	v_mul_f16_e64 v151, 0x2b26, v137
	v_mul_f16_e32 v36, 0x3a52, v36
	v_mul_f16_e64 v153, 0x2b26, v34
	v_fmamk_f16 v33, v33, 0x2b26, v35
	v_fma_f16 v29, v42, 0x3b00, -v149
	v_fma_f16 v42, 0x3574, v134, v149
	v_fmac_f16_e64 v150, 0xb574, v134
	v_add_f16_e64 v38, v38, v139
	v_fma_f16 v28, v28, 0x3b00, -v155
	v_add_f16_e64 v141, v142, v32
	v_fmac_f16_e64 v145, 0x370e, v25
	v_fmac_f16_e32 v27, 0x370e, v25
	v_fmac_f16_e64 v148, 0x370e, v25
	v_fma_f16 v25, 0xbcab, v133, v37
	v_fma_f16 v31, 0xbcab, v31, v140
	v_fma_f16 v35, v146, 0xb9e0, -v35
	v_fma_f16 v134, 0x2b26, v137, v135
	v_fma_f16 v137, v152, 0x39e0, -v151
	v_fma_f16 v135, v152, 0xb9e0, -v135
	v_fmamk_f16 v34, v34, 0x2b26, v36
	v_fma_f16 v146, v154, 0x39e0, -v153
	v_fma_f16 v36, v154, 0xb9e0, -v36
	v_fmac_f16_e32 v42, 0x370e, v40
	v_fmac_f16_e32 v29, 0x370e, v40
	v_fmac_f16_e64 v150, 0x370e, v40
	v_fma_f16 v40, 0xbcab, v139, v38
	v_fma_f16 v32, 0xbcab, v32, v141
	v_fmac_f16_e64 v147, 0x370e, v26
	v_fmac_f16_e32 v28, 0x370e, v26
	v_fmac_f16_e64 v156, 0x370e, v26
	v_add_f16_e32 v26, v41, v25
	v_add_f16_e32 v33, v33, v31
	v_add_f16_e64 v41, v143, v25
	v_add_f16_e32 v25, v39, v25
	v_add_f16_e64 v39, v144, v31
	v_add_f16_e32 v31, v35, v31
	v_fmac_f16_e64 v138, 0x370e, v136
	v_fmac_f16_e64 v30, 0x370e, v136
	;; [unrolled: 1-line block ×3, first 2 shown]
	v_add_f16_e64 v35, v134, v40
	v_add_f16_e64 v133, v137, v40
	;; [unrolled: 1-line block ×4, first 2 shown]
	v_add_f16_e32 v34, v34, v32
	v_add_f16_e32 v32, v36, v32
	v_add_f16_e64 v136, v42, v26
	v_sub_f16_e32 v26, v26, v42
	v_sub_f16_e64 v42, v33, v145
	v_sub_f16_e32 v36, v41, v29
	v_add_f16_e32 v29, v29, v41
	v_add_f16_e32 v41, v27, v39
	v_sub_f16_e32 v27, v39, v27
	v_add_f16_e64 v39, v150, v25
	v_sub_f16_e64 v135, v31, v148
	v_sub_f16_e64 v25, v25, v150
	v_add_f16_e64 v31, v148, v31
	v_pack_b32_f16 v37, v37, v140
	v_add_f16_e64 v33, v145, v33
	v_sub_f16_e64 v137, v133, v30
	v_add_f16_e64 v30, v30, v133
	v_add_f16_e64 v133, v28, v134
	v_sub_f16_e64 v28, v134, v28
	v_add_f16_e64 v134, v158, v40
	v_sub_f16_e64 v40, v40, v158
	v_sub_f16_e64 v139, v32, v156
	v_add_f16_e64 v32, v156, v32
	v_add_f16_e64 v140, v138, v35
	v_sub_f16_e64 v35, v35, v138
	v_sub_f16_e64 v138, v34, v147
	v_add_f16_e64 v34, v147, v34
	v_pack_b32_f16 v42, v136, v42
	v_pack_b32_f16 v39, v39, v135
	;; [unrolled: 1-line block ×13, first 2 shown]
	ds_store_b32 v72, v42 offset:448
	ds_store_b32 v72, v39 offset:896
	;; [unrolled: 1-line block ×6, first 2 shown]
	ds_store_2addr_b32 v72, v37, v38 offset1:56
	ds_store_b32 v72, v29 offset:672
	ds_store_b32 v72, v31 offset:1120
	;; [unrolled: 1-line block ×6, first 2 shown]
	global_wb scope:SCOPE_SE
	s_wait_dscnt 0x0
	s_barrier_signal -1
	s_barrier_wait -1
	global_inv scope:SCOPE_SE
	global_load_b32 v27, v72, s[8:9] offset:3136
	s_add_nc_u64 s[8:9], s[8:9], 0xc40
	s_clause 0xc
	global_load_b32 v33, v72, s[8:9] offset:224
	global_load_b32 v37, v72, s[8:9] offset:2016
	;; [unrolled: 1-line block ×13, first 2 shown]
	ds_load_2addr_b32 v[25:26], v72 offset1:56
	s_wait_dscnt 0x0
	v_lshrrev_b32_e32 v29, 16, v25
	v_lshrrev_b32_e32 v34, 16, v26
	s_wait_loadcnt 0xc
	v_lshrrev_b32_e32 v31, 16, v33
	s_wait_loadcnt 0xb
	;; [unrolled: 2-line block ×5, first 2 shown]
	v_lshrrev_b32_e32 v142, 16, v40
	v_mul_f16_e32 v35, v26, v31
	s_wait_loadcnt 0x6
	v_lshrrev_b32_e32 v144, 16, v42
	v_lshrrev_b32_e32 v143, 16, v41
	s_wait_loadcnt 0x4
	v_lshrrev_b32_e32 v146, 16, v134
	v_lshrrev_b32_e32 v28, 16, v27
	v_fmac_f16_e32 v35, v34, v33
	v_lshrrev_b32_e32 v145, 16, v133
	s_wait_loadcnt 0x3
	v_lshrrev_b32_e32 v147, 16, v135
	s_wait_loadcnt 0x2
	v_lshrrev_b32_e32 v148, 16, v136
	v_mul_f16_e32 v30, v25, v28
	v_mul_f16_e32 v28, v29, v28
	s_wait_loadcnt 0x1
	v_lshrrev_b32_e32 v149, 16, v137
	s_wait_loadcnt 0x0
	v_lshrrev_b32_e32 v150, 16, v138
	v_fmac_f16_e32 v30, v29, v27
	v_fma_f16 v25, v25, v27, -v28
	s_delay_alu instid0(VALU_DEP_1)
	v_pack_b32_f16 v25, v25, v30
	ds_store_b32 v72, v25
	ds_load_2addr_b32 v[27:28], v74 offset0:192 offset1:248
	v_mul_f16_e32 v25, v34, v31
	ds_load_2addr_b32 v[29:30], v72 offset0:112 offset1:168
	ds_load_2addr_b32 v[31:32], v70 offset0:48 offset1:104
	v_fma_f16 v36, v26, v33, -v25
	ds_load_2addr_b32 v[25:26], v73 offset0:96 offset1:152
	v_pack_b32_f16 v151, v36, v35
	ds_load_2addr_b32 v[33:34], v74 offset0:80 offset1:136
	ds_load_2addr_b32 v[35:36], v70 offset0:160 offset1:216
	s_wait_dscnt 0x5
	v_lshrrev_b32_e32 v154, 16, v27
	v_lshrrev_b32_e32 v152, 16, v28
	v_mul_f16_e64 v153, v28, v139
	v_mul_f16_e64 v155, v27, v140
	s_wait_dscnt 0x4
	v_lshrrev_b32_e32 v156, 16, v29
	v_mul_f16_e64 v140, v154, v140
	v_mul_f16_e64 v139, v152, v139
	;; [unrolled: 1-line block ×3, first 2 shown]
	v_lshrrev_b32_e32 v158, 16, v30
	v_mul_f16_e64 v159, v30, v142
	s_wait_dscnt 0x3
	v_lshrrev_b32_e32 v162, 16, v32
	v_fmac_f16_e64 v153, v152, v37
	v_mul_f16_e64 v152, v32, v144
	v_fma_f16 v27, v27, v38, -v140
	s_wait_dscnt 0x2
	v_lshrrev_b32_e32 v140, 16, v26
	v_fmac_f16_e64 v155, v154, v38
	v_mul_f16_e64 v38, v26, v146
	v_lshrrev_b32_e32 v160, 16, v31
	s_wait_dscnt 0x1
	v_lshrrev_b32_e32 v154, 16, v34
	v_fma_f16 v28, v28, v37, -v139
	v_lshrrev_b32_e32 v37, 16, v25
	v_mul_f16_e64 v161, v31, v143
	v_mul_f16_e64 v139, v25, v145
	;; [unrolled: 1-line block ×3, first 2 shown]
	v_fmac_f16_e64 v157, v156, v39
	v_mul_f16_e64 v156, v34, v147
	v_mul_f16_e64 v142, v158, v142
	v_fmac_f16_e64 v159, v158, v40
	v_lshrrev_b32_e32 v158, 16, v33
	v_mul_f16_e64 v144, v162, v144
	v_fmac_f16_e64 v152, v162, v42
	s_wait_dscnt 0x0
	v_lshrrev_b32_e32 v162, 16, v35
	v_mul_f16_e64 v146, v140, v146
	v_fmac_f16_e64 v38, v140, v134
	v_lshrrev_b32_e32 v140, 16, v36
	v_mul_f16_e64 v143, v160, v143
	v_mul_f16_e64 v147, v154, v147
	;; [unrolled: 1-line block ×3, first 2 shown]
	v_fmac_f16_e64 v161, v160, v41
	v_mul_f16_e64 v160, v33, v148
	v_fmac_f16_e64 v139, v37, v133
	v_mul_f16_e64 v37, v35, v149
	;; [unrolled: 2-line block ×3, first 2 shown]
	v_mul_f16_e64 v148, v158, v148
	v_mul_f16_e64 v149, v162, v149
	;; [unrolled: 1-line block ×3, first 2 shown]
	v_fma_f16 v31, v31, v41, -v143
	v_fma_f16 v34, v34, v135, -v147
	;; [unrolled: 1-line block ×5, first 2 shown]
	v_fmac_f16_e64 v160, v158, v136
	v_fmac_f16_e64 v37, v162, v137
	;; [unrolled: 1-line block ×3, first 2 shown]
	v_fma_f16 v32, v32, v42, -v144
	v_fma_f16 v26, v26, v134, -v146
	;; [unrolled: 1-line block ×5, first 2 shown]
	v_add_nc_u32_e32 v158, 0x600, v72
	v_pack_b32_f16 v28, v28, v153
	v_pack_b32_f16 v31, v31, v161
	;; [unrolled: 1-line block ×12, first 2 shown]
	ds_store_2addr_b32 v158, v28, v31 offset0:120 offset1:176
	ds_store_2addr_b32 v74, v34, v27 offset0:136 offset1:192
	;; [unrolled: 1-line block ×6, first 2 shown]
	ds_store_b32 v72, v36 offset:2912
	global_wb scope:SCOPE_SE
	s_wait_dscnt 0x0
	s_barrier_signal -1
	s_barrier_wait -1
	global_inv scope:SCOPE_SE
	ds_load_2addr_b32 v[27:28], v72 offset1:56
	ds_load_2addr_b32 v[25:26], v74 offset0:80 offset1:136
	ds_load_2addr_b32 v[31:32], v74 offset0:192 offset1:248
	;; [unrolled: 1-line block ×6, first 2 shown]
	global_wb scope:SCOPE_SE
	s_wait_dscnt 0x0
	s_barrier_signal -1
	s_barrier_wait -1
	global_inv scope:SCOPE_SE
	v_mad_co_u64_u32 v[41:42], null, s4, v75, 0
	v_mad_co_u64_u32 v[39:40], null, s6, v20, 0
	v_pk_add_f16 v134, v27, v26 neg_lo:[0,1] neg_hi:[0,1]
	v_pk_add_f16 v136, v28, v31 neg_lo:[0,1] neg_hi:[0,1]
	;; [unrolled: 1-line block ×7, first 2 shown]
	v_pk_fma_f16 v133, v27, 2.0, v134 op_sel_hi:[1,0,1] neg_lo:[0,0,1] neg_hi:[0,0,1]
	v_pk_fma_f16 v135, v28, 2.0, v136 op_sel_hi:[1,0,1] neg_lo:[0,0,1] neg_hi:[0,0,1]
	;; [unrolled: 1-line block ×7, first 2 shown]
	ds_store_2addr_b64 v113, v[133:134], v[135:136] offset1:56
	ds_store_2addr_b64 v111, v[31:32], v[137:138] offset0:112 offset1:168
	ds_store_2addr_b64 v115, v[35:36], v[139:140] offset0:96 offset1:152
	ds_store_b64 v111, v[25:26] offset:2688
	global_wb scope:SCOPE_SE
	s_wait_dscnt 0x0
	s_barrier_signal -1
	s_barrier_wait -1
	global_inv scope:SCOPE_SE
	ds_load_2addr_b32 v[25:26], v74 offset0:192 offset1:248
	ds_load_2addr_b32 v[27:28], v74 offset0:80 offset1:136
	;; [unrolled: 1-line block ×4, first 2 shown]
	v_mov_b32_e32 v32, v42
	ds_load_2addr_b32 v[133:134], v72 offset1:56
	ds_load_2addr_b32 v[135:136], v72 offset0:112 offset1:168
	ds_load_2addr_b32 v[137:138], v73 offset0:96 offset1:152
	v_mov_b32_e32 v31, v40
	v_mad_co_u64_u32 v[37:38], null, s4, v76, 0
	global_wb scope:SCOPE_SE
	s_wait_dscnt 0x0
	s_barrier_signal -1
	v_mad_co_u64_u32 v[35:36], null, s7, v20, v[31:32]
	s_barrier_wait -1
	global_inv scope:SCOPE_SE
	v_lshrrev_b32_e32 v36, 16, v28
	v_lshrrev_b32_e32 v42, 16, v30
	v_mul_f16_e32 v115, v100, v30
	v_mul_f16_e64 v142, v100, v28
	v_mad_co_u64_u32 v[31:32], null, s5, v75, v[32:33]
	v_lshrrev_b32_e32 v20, 16, v25
	v_lshrrev_b32_e32 v32, 16, v26
	;; [unrolled: 1-line block ×3, first 2 shown]
	v_mul_f16_e32 v111, v100, v26
	v_mul_f16_e32 v113, v100, v29
	v_lshrrev_b32_e32 v139, 16, v33
	v_lshrrev_b32_e32 v141, 16, v34
	v_mul_f16_e64 v154, v100, v42
	v_fma_f16 v42, v90, v42, -v115
	v_fma_f16 v115, v90, v36, -v142
	v_mul_f16_e32 v36, v100, v36
	v_mul_f16_e32 v75, v100, v25
	v_mul_f16_e64 v151, v100, v20
	v_mul_f16_e64 v152, v100, v32
	;; [unrolled: 1-line block ×5, first 2 shown]
	v_lshrrev_b32_e32 v144, 16, v133
	v_fma_f16 v32, v90, v32, -v111
	v_fma_f16 v40, v90, v40, -v113
	v_mul_f16_e64 v111, v100, v139
	v_mul_f16_e64 v113, v100, v141
	v_fmac_f16_e32 v36, v90, v28
	v_lshrrev_b32_e32 v145, 16, v134
	v_fma_f16 v20, v90, v20, -v75
	v_fmac_f16_e64 v151, v90, v25
	v_lshrrev_b32_e32 v146, 16, v135
	v_lshrrev_b32_e32 v148, 16, v137
	v_fmac_f16_e64 v152, v90, v26
	v_lshrrev_b32_e32 v147, 16, v136
	v_fmac_f16_e64 v153, v90, v29
	v_fmac_f16_e64 v154, v90, v30
	v_lshrrev_b32_e32 v149, 16, v138
	v_lshrrev_b32_e32 v150, 16, v27
	v_fma_f16 v75, v90, v139, -v140
	v_fma_f16 v100, v90, v141, -v143
	v_fmac_f16_e32 v111, v90, v33
	v_fmac_f16_e32 v113, v90, v34
	v_sub_f16_e64 v25, v144, v115
	v_sub_f16_e64 v33, v133, v36
	;; [unrolled: 1-line block ×12, first 2 shown]
	v_fma_f16 v36, v144, 2.0, -v25
	v_sub_f16_e64 v111, v138, v111
	v_sub_f16_e32 v113, v27, v113
	v_pack_b32_f16 v25, v33, v25
	v_fma_f16 v33, v133, 2.0, -v33
	v_fma_f16 v40, v145, 2.0, -v20
	;; [unrolled: 1-line block ×4, first 2 shown]
	v_pack_b32_f16 v20, v34, v20
	v_fma_f16 v34, v135, 2.0, -v42
	v_fma_f16 v100, v147, 2.0, -v28
	v_pack_b32_f16 v26, v42, v26
	v_fma_f16 v42, v136, 2.0, -v90
	v_fma_f16 v139, v148, 2.0, -v29
	;; [unrolled: 3-line block ×3, first 2 shown]
	v_fma_f16 v141, v150, 2.0, -v32
	v_pack_b32_f16 v29, v115, v29
	v_fma_f16 v115, v138, 2.0, -v111
	v_fma_f16 v27, v27, 2.0, -v113
	v_pack_b32_f16 v33, v33, v36
	v_pack_b32_f16 v36, v133, v40
	;; [unrolled: 1-line block ×9, first 2 shown]
	ds_store_2addr_b32 v92, v33, v25 offset1:2
	ds_store_2addr_b32 v93, v36, v20 offset1:2
	;; [unrolled: 1-line block ×7, first 2 shown]
	v_mov_b32_e32 v20, v38
	global_wb scope:SCOPE_SE
	s_wait_dscnt 0x0
	s_barrier_signal -1
	s_barrier_wait -1
	global_inv scope:SCOPE_SE
	ds_load_2addr_b32 v[25:26], v74 offset0:80 offset1:136
	ds_load_2addr_b32 v[27:28], v74 offset0:192 offset1:248
	;; [unrolled: 1-line block ×3, first 2 shown]
	v_mov_b32_e32 v42, v31
	v_mad_co_u64_u32 v[31:32], null, s5, v76, v[20:21]
	ds_load_2addr_b32 v[32:33], v70 offset0:160 offset1:216
	v_mov_b32_e32 v40, v35
	v_lshlrev_b64_e32 v[41:42], 2, v[41:42]
	s_delay_alu instid0(VALU_DEP_2)
	v_lshlrev_b64_e32 v[34:35], 2, v[39:40]
	ds_load_2addr_b32 v[38:39], v72 offset1:56
	ds_load_2addr_b32 v[75:76], v72 offset0:112 offset1:168
	ds_load_2addr_b32 v[92:93], v73 offset0:96 offset1:152
	global_wb scope:SCOPE_SE
	s_wait_dscnt 0x0
	s_barrier_signal -1
	s_barrier_wait -1
	global_inv scope:SCOPE_SE
	v_lshrrev_b32_e32 v20, 16, v26
	v_mul_f16_e32 v36, v109, v26
	v_lshrrev_b32_e32 v40, 16, v27
	v_mul_f16_e32 v90, v109, v27
	;; [unrolled: 2-line block ×3, first 2 shown]
	v_lshrrev_b32_e32 v96, 16, v29
	v_lshrrev_b32_e32 v98, 16, v30
	v_mul_f16_e32 v97, v109, v29
	v_lshrrev_b32_e32 v111, 16, v32
	v_lshrrev_b32_e32 v113, 16, v33
	v_fma_f16 v36, v91, v20, -v36
	v_mul_f16_e32 v20, v109, v20
	v_fma_f16 v90, v91, v40, -v90
	v_mul_f16_e32 v40, v109, v40
	v_mul_f16_e64 v141, v109, v94
	v_fma_f16 v94, v91, v94, -v95
	v_mul_f16_e32 v95, v109, v96
	v_mul_f16_e32 v100, v109, v30
	v_mul_f16_e64 v142, v109, v98
	v_mul_f16_e32 v115, v109, v32
	v_mul_f16_e64 v133, v109, v33
	v_lshrrev_b32_e32 v134, 16, v38
	v_fma_f16 v96, v91, v96, -v97
	v_mul_f16_e32 v97, v109, v111
	v_mul_f16_e64 v143, v109, v113
	v_fmac_f16_e32 v20, v91, v26
	v_lshrrev_b32_e32 v135, 16, v39
	v_fmac_f16_e32 v40, v91, v27
	v_lshrrev_b32_e32 v136, 16, v75
	v_fmac_f16_e64 v141, v91, v28
	v_lshrrev_b32_e32 v137, 16, v76
	v_fmac_f16_e32 v95, v91, v29
	v_lshrrev_b32_e32 v138, 16, v92
	v_fma_f16 v98, v91, v98, -v100
	v_fmac_f16_e64 v142, v91, v30
	v_lshrrev_b32_e32 v139, 16, v93
	v_lshrrev_b32_e32 v140, 16, v25
	v_fma_f16 v100, v91, v111, -v115
	v_fma_f16 v109, v91, v113, -v133
	v_fmac_f16_e32 v97, v91, v32
	v_fmac_f16_e64 v143, v91, v33
	v_sub_f16_e64 v26, v134, v36
	v_sub_f16_e32 v20, v38, v20
	v_sub_f16_e64 v27, v135, v90
	v_sub_f16_e32 v36, v39, v40
	v_sub_f16_e64 v28, v136, v94
	v_sub_f16_e64 v91, v75, v141
	;; [unrolled: 1-line block ×3, first 2 shown]
	v_sub_f16_e32 v94, v76, v95
	v_sub_f16_e64 v30, v138, v98
	v_sub_f16_e64 v98, v92, v142
	;; [unrolled: 1-line block ×4, first 2 shown]
	v_fma_f16 v40, v134, 2.0, -v26
	v_sub_f16_e32 v97, v93, v97
	v_sub_f16_e64 v111, v25, v143
	v_pack_b32_f16 v26, v20, v26
	v_fma_f16 v20, v38, 2.0, -v20
	v_fma_f16 v90, v135, 2.0, -v27
	v_fma_f16 v38, v39, 2.0, -v36
	v_fma_f16 v95, v136, 2.0, -v28
	v_pack_b32_f16 v27, v36, v27
	v_fma_f16 v36, v75, 2.0, -v91
	v_fma_f16 v96, v137, 2.0, -v29
	;; [unrolled: 1-line block ×9, first 2 shown]
	v_pack_b32_f16 v20, v20, v40
	v_pack_b32_f16 v38, v38, v90
	;; [unrolled: 1-line block ×12, first 2 shown]
	ds_store_2addr_b32 v99, v20, v26 offset1:4
	ds_store_2addr_b32 v101, v38, v27 offset1:4
	;; [unrolled: 1-line block ×7, first 2 shown]
	v_add_co_u32 v40, vcc_lo, s0, v34
	s_wait_alu 0xfffd
	v_add_co_ci_u32_e32 v39, vcc_lo, s1, v35, vcc_lo
	global_wb scope:SCOPE_SE
	s_wait_dscnt 0x0
	s_barrier_signal -1
	s_barrier_wait -1
	global_inv scope:SCOPE_SE
	ds_load_2addr_b32 v[29:30], v74 offset0:80 offset1:136
	ds_load_2addr_b32 v[32:33], v72 offset1:56
	ds_load_2addr_b32 v[34:35], v74 offset0:192 offset1:248
	v_add_co_u32 v25, vcc_lo, v40, v41
	s_wait_alu 0xfffd
	v_add_co_ci_u32_e32 v26, vcc_lo, v39, v42, vcc_lo
	ds_load_2addr_b32 v[41:42], v72 offset0:112 offset1:168
	ds_load_2addr_b32 v[75:76], v70 offset0:48 offset1:104
	;; [unrolled: 1-line block ×4, first 2 shown]
	global_wb scope:SCOPE_SE
	s_wait_dscnt 0x0
	s_barrier_signal -1
	s_barrier_wait -1
	global_inv scope:SCOPE_SE
	v_add_co_u32 v27, vcc_lo, v25, s46
	s_wait_alu 0xfffd
	v_add_co_ci_u32_e32 v28, vcc_lo, s47, v26, vcc_lo
	v_lshrrev_b32_e32 v20, 16, v30
	v_mul_f16_e64 v36, v132, v30
	v_lshrrev_b32_e32 v94, 16, v34
	v_lshrrev_b32_e32 v97, 16, v35
	v_mul_f16_e64 v95, v132, v34
	v_mul_f16_e64 v98, v132, v35
	v_lshrrev_b32_e32 v100, 16, v75
	v_mul_f16_e64 v101, v132, v75
	v_lshrrev_b32_e32 v103, 16, v76
	;; [unrolled: 2-line block ×3, first 2 shown]
	v_lshrrev_b32_e32 v109, 16, v93
	v_mul_f16_e64 v111, v132, v92
	v_fma_f16 v36, v89, v20, -v36
	v_mul_f16_e64 v20, v132, v20
	v_mul_f16_e64 v134, v132, v94
	;; [unrolled: 1-line block ×3, first 2 shown]
	v_lshrrev_b32_e32 v96, 16, v33
	v_fma_f16 v94, v89, v94, -v95
	v_fma_f16 v95, v89, v97, -v98
	v_mul_f16_e64 v98, v132, v100
	v_fma_f16 v97, v89, v100, -v101
	v_fma_f16 v100, v89, v103, -v104
	v_mul_f16_e64 v101, v132, v103
	v_mul_f16_e64 v104, v132, v106
	v_lshrrev_b32_e32 v38, 16, v32
	v_mul_f16_e64 v113, v132, v93
	v_fma_f16 v103, v89, v106, -v111
	v_mul_f16_e64 v106, v132, v109
	v_fmac_f16_e32 v20, v89, v30
	v_fmac_f16_e64 v134, v89, v34
	v_lshrrev_b32_e32 v99, 16, v41
	v_fmac_f16_e64 v135, v89, v35
	v_lshrrev_b32_e32 v102, 16, v42
	v_sub_f16_e32 v34, v96, v94
	v_fmac_f16_e32 v98, v89, v75
	v_lshrrev_b32_e32 v105, 16, v90
	v_lshrrev_b32_e32 v115, 16, v91
	v_fmac_f16_e32 v101, v89, v76
	v_fmac_f16_e32 v104, v89, v92
	v_lshrrev_b32_e32 v133, 16, v29
	v_fma_f16 v109, v89, v109, -v113
	v_sub_f16_e32 v30, v38, v36
	v_fmac_f16_e32 v106, v89, v93
	v_sub_f16_e32 v20, v32, v20
	v_sub_f16_e64 v92, v33, v134
	v_sub_f16_e32 v35, v99, v95
	v_sub_f16_e64 v94, v41, v135
	v_sub_f16_e32 v36, v102, v97
	v_fma_f16 v93, v96, 2.0, -v34
	v_sub_f16_e32 v96, v42, v98
	v_sub_f16_e32 v75, v105, v100
	;; [unrolled: 1-line block ×5, first 2 shown]
	v_sub_f16_e64 v89, v133, v109
	v_fma_f16 v38, v38, 2.0, -v30
	v_sub_f16_e32 v101, v29, v106
	v_pack_b32_f16 v30, v20, v30
	v_fma_f16 v20, v32, 2.0, -v20
	v_fma_f16 v32, v33, 2.0, -v92
	;; [unrolled: 1-line block ×3, first 2 shown]
	v_pack_b32_f16 v33, v92, v34
	v_pack_b32_f16 v34, v94, v35
	v_fma_f16 v35, v41, 2.0, -v94
	v_fma_f16 v97, v102, 2.0, -v36
	;; [unrolled: 1-line block ×5, first 2 shown]
	v_pack_b32_f16 v42, v98, v75
	v_fma_f16 v75, v90, 2.0, -v98
	v_fma_f16 v90, v91, 2.0, -v100
	;; [unrolled: 1-line block ×4, first 2 shown]
	v_pack_b32_f16 v20, v20, v38
	v_pack_b32_f16 v32, v32, v93
	;; [unrolled: 1-line block ×10, first 2 shown]
	ds_store_2addr_b32 v125, v20, v30 offset1:8
	ds_store_2addr_b32 v126, v32, v33 offset1:8
	;; [unrolled: 1-line block ×7, first 2 shown]
	global_wb scope:SCOPE_SE
	s_wait_dscnt 0x0
	s_barrier_signal -1
	s_barrier_wait -1
	global_inv scope:SCOPE_SE
	ds_load_2addr_b32 v[33:34], v72 offset0:112 offset1:168
	ds_load_2addr_b32 v[35:36], v73 offset0:96 offset1:152
	;; [unrolled: 1-line block ×6, first 2 shown]
	ds_load_2addr_b32 v[93:94], v72 offset1:56
	v_add_co_u32 v29, vcc_lo, v27, s48
	global_wb scope:SCOPE_SE
	s_wait_dscnt 0x0
	s_barrier_signal -1
	s_barrier_wait -1
	global_inv scope:SCOPE_SE
	s_wait_alu 0xfffd
	v_add_co_ci_u32_e32 v30, vcc_lo, s49, v28, vcc_lo
	v_mov_b32_e32 v38, v31
	s_delay_alu instid0(VALU_DEP_2)
	v_mad_co_u64_u32 v[31:32], null, 0xe0, s4, v[29:30]
	v_lshrrev_b32_e32 v20, 16, v33
	v_mul_f16_e32 v95, v122, v33
	v_lshrrev_b32_e32 v96, 16, v35
	v_mul_f16_e32 v97, v123, v35
	;; [unrolled: 2-line block ×10, first 2 shown]
	v_lshrrev_b32_e32 v128, 16, v90
	v_mul_f16_e64 v129, v116, v90
	v_lshrrev_b32_e32 v130, 16, v92
	v_mul_f16_e64 v131, v114, v92
	v_mul_f16_e32 v122, v122, v20
	v_fma_f16 v20, v12, v20, -v95
	v_mul_f16_e32 v95, v123, v96
	v_fma_f16 v96, v13, v96, -v97
	;; [unrolled: 2-line block ×4, first 2 shown]
	v_mul_f16_e32 v101, v118, v102
	v_mul_f16_e32 v118, v119, v104
	v_mul_f16_e32 v119, v120, v106
	v_fma_f16 v102, v8, v102, -v103
	v_fma_f16 v103, v9, v104, -v105
	;; [unrolled: 1-line block ×3, first 2 shown]
	v_mul_f16_e32 v105, v117, v111
	v_fma_f16 v106, v11, v111, -v113
	v_mul_f16_e32 v109, v112, v115
	v_fma_f16 v111, v21, v115, -v125
	;; [unrolled: 2-line block ×3, first 2 shown]
	v_mul_f16_e64 v113, v116, v128
	v_fma_f16 v115, v23, v128, -v129
	v_mul_f16_e64 v114, v114, v130
	v_fma_f16 v116, v24, v130, -v131
	v_fmac_f16_e32 v122, v12, v33
	v_fmac_f16_e32 v95, v13, v35
	;; [unrolled: 1-line block ×12, first 2 shown]
	v_add_f16_e32 v8, v20, v112
	v_sub_f16_e32 v9, v20, v112
	v_add_f16_e32 v10, v96, v111
	v_sub_f16_e32 v11, v96, v111
	;; [unrolled: 2-line block ×5, first 2 shown]
	v_sub_f16_e32 v23, v106, v104
	v_add_f16_e32 v22, v104, v106
	v_add_f16_e32 v24, v122, v110
	;; [unrolled: 1-line block ×3, first 2 shown]
	v_sub_f16_e32 v35, v95, v109
	v_add_f16_e32 v36, v97, v99
	v_sub_f16_e32 v41, v99, v97
	v_add_f16_e32 v42, v101, v114
	;; [unrolled: 2-line block ×3, first 2 shown]
	v_sub_f16_e32 v89, v118, v113
	v_sub_f16_e32 v91, v105, v119
	v_add_f16_e32 v92, v10, v8
	v_sub_f16_e32 v95, v10, v8
	v_sub_f16_e32 v8, v8, v12
	;; [unrolled: 1-line block ×3, first 2 shown]
	v_add_f16_e32 v96, v13, v11
	v_sub_f16_e32 v97, v13, v11
	v_sub_f16_e32 v11, v11, v9
	v_add_f16_e32 v98, v20, v14
	v_add_f16_e32 v100, v23, v21
	v_sub_f16_e32 v101, v23, v21
	v_sub_f16_e32 v21, v21, v15
	;; [unrolled: 1-line block ×6, first 2 shown]
	v_lshrrev_b32_e32 v132, 16, v93
	v_lshrrev_b32_e32 v133, 16, v94
	v_add_f16_e32 v90, v119, v105
	v_sub_f16_e32 v13, v9, v13
	v_sub_f16_e32 v23, v15, v23
	v_add_f16_e32 v12, v12, v92
	v_add_f16_e32 v22, v22, v98
	;; [unrolled: 1-line block ×3, first 2 shown]
	v_mul_f16_e32 v8, 0x3a52, v8
	v_mul_f16_e32 v102, 0x2b26, v10
	;; [unrolled: 1-line block ×4, first 2 shown]
	v_add_f16_e32 v104, v76, v42
	v_add_f16_e32 v106, v91, v89
	v_mul_f16_e32 v101, 0x3846, v101
	v_mul_f16_e32 v111, 0x3b00, v21
	v_add_f16_e32 v9, v96, v9
	v_add_f16_e32 v15, v100, v15
	v_sub_f16_e32 v96, v34, v24
	v_sub_f16_e32 v24, v24, v36
	v_sub_f16_e32 v34, v36, v34
	v_add_f16_e32 v98, v41, v35
	v_sub_f16_e32 v100, v41, v35
	v_sub_f16_e32 v35, v35, v33
	v_mul_f16_e32 v14, 0x3a52, v14
	v_mul_f16_e32 v110, 0x2b26, v20
	v_sub_f16_e32 v109, v91, v89
	v_sub_f16_e32 v91, v75, v91
	;; [unrolled: 1-line block ×3, first 2 shown]
	v_add_f16_e32 v36, v36, v92
	v_fmamk_f16 v10, v10, 0x2b26, v8
	v_fma_f16 v92, v95, 0x39e0, -v102
	v_fma_f16 v8, v95, 0xb9e0, -v8
	;; [unrolled: 1-line block ×3, first 2 shown]
	v_fmamk_f16 v95, v13, 0xb574, v97
	v_fmac_f16_e32 v103, 0x3574, v13
	v_add_f16_e32 v13, v90, v104
	v_add_f16_e32 v75, v106, v75
	v_fma_f16 v21, v21, 0xbb00, -v101
	v_fmamk_f16 v97, v23, 0xb574, v101
	v_fmac_f16_e32 v111, 0x3574, v23
	v_add_f16_e64 v104, v132, v12
	v_add_f16_e64 v106, v133, v22
	v_sub_f16_e32 v41, v33, v41
	v_sub_f16_e32 v105, v76, v42
	;; [unrolled: 1-line block ×4, first 2 shown]
	v_add_f16_e32 v33, v98, v33
	v_fmamk_f16 v20, v20, 0x2b26, v14
	v_fma_f16 v90, v99, 0x39e0, -v110
	v_fma_f16 v14, v99, 0xb9e0, -v14
	v_mul_f16_e32 v23, 0x3a52, v24
	v_mul_f16_e32 v24, 0x2b26, v34
	;; [unrolled: 1-line block ×4, first 2 shown]
	v_fmac_f16_e32 v95, 0xb70e, v9
	v_fmac_f16_e32 v11, 0xb70e, v9
	;; [unrolled: 1-line block ×3, first 2 shown]
	v_add_f16_e32 v9, v93, v36
	v_fmamk_f16 v12, v12, 0xbcab, v104
	v_fmac_f16_e32 v97, 0xb70e, v15
	v_fmac_f16_e32 v21, 0xb70e, v15
	;; [unrolled: 1-line block ×3, first 2 shown]
	v_fmamk_f16 v15, v22, 0xbcab, v106
	v_mul_f16_e32 v42, 0x3a52, v42
	v_mul_f16_e32 v100, 0x2b26, v76
	v_mul_f16_e32 v101, 0x3846, v109
	v_mul_f16_e32 v102, 0x3b00, v89
	v_fmamk_f16 v34, v34, 0x2b26, v23
	v_fma_f16 v24, v96, 0x39e0, -v24
	v_fma_f16 v23, v96, 0xb9e0, -v23
	v_fmamk_f16 v96, v41, 0xb574, v98
	v_fmac_f16_e32 v99, 0x3574, v41
	v_add_f16_e32 v41, v94, v13
	v_add_f16_e32 v10, v10, v12
	;; [unrolled: 1-line block ×7, first 2 shown]
	v_fmamk_f16 v15, v36, 0xbcab, v9
	v_fma_f16 v35, v35, 0xbb00, -v98
	v_fmamk_f16 v76, v76, 0x2b26, v42
	v_fma_f16 v93, v105, 0x39e0, -v100
	v_fma_f16 v42, v105, 0xb9e0, -v42
	;; [unrolled: 1-line block ×3, first 2 shown]
	v_fmamk_f16 v94, v91, 0xb574, v101
	v_fmac_f16_e32 v102, 0x3574, v91
	v_fmamk_f16 v13, v13, 0xbcab, v41
	v_fmac_f16_e32 v96, 0xb70e, v33
	v_add_f16_e32 v34, v34, v15
	v_fmac_f16_e32 v35, 0xb70e, v33
	v_fmac_f16_e32 v99, 0xb70e, v33
	v_add_f16_e32 v24, v24, v15
	v_add_f16_e32 v15, v23, v15
	v_fmac_f16_e32 v94, 0xb70e, v75
	v_fmac_f16_e32 v89, 0xb70e, v75
	;; [unrolled: 1-line block ×3, first 2 shown]
	v_pack_b32_f16 v33, v41, v106
	v_add_f16_e32 v41, v76, v13
	v_add_f16_e32 v75, v93, v13
	;; [unrolled: 1-line block ×3, first 2 shown]
	v_sub_f16_e32 v36, v10, v96
	v_add_f16_e32 v91, v95, v34
	v_add_f16_e32 v23, v35, v22
	v_sub_f16_e32 v22, v22, v35
	v_sub_f16_e32 v35, v8, v99
	;; [unrolled: 1-line block ×3, first 2 shown]
	v_add_f16_e32 v11, v11, v24
	v_add_f16_e32 v24, v103, v15
	;; [unrolled: 1-line block ×3, first 2 shown]
	v_sub_f16_e32 v15, v15, v103
	v_add_f16_e32 v10, v96, v10
	v_sub_f16_e32 v34, v34, v95
	v_add_f16_e32 v42, v89, v20
	v_sub_f16_e32 v20, v20, v89
	v_sub_f16_e32 v76, v14, v102
	v_add_f16_e32 v14, v102, v14
	v_sub_f16_e32 v89, v12, v94
	v_add_f16_e32 v12, v94, v12
	;; [unrolled: 2-line block ×3, first 2 shown]
	v_add_f16_e32 v75, v111, v13
	v_sub_f16_e32 v13, v13, v111
	v_add_f16_e32 v93, v97, v41
	v_sub_f16_e32 v41, v41, v97
	v_pack_b32_f16 v9, v9, v104
	v_pack_b32_f16 v36, v91, v36
	;; [unrolled: 1-line block ×13, first 2 shown]
	ds_store_2addr_b32 v108, v9, v36 offset1:16
	ds_store_2addr_b32 v108, v24, v23 offset0:32 offset1:48
	ds_store_2addr_b32 v108, v11, v8 offset0:64 offset1:80
	ds_store_b32 v108, v10 offset:384
	ds_store_2addr_b32 v107, v33, v15 offset1:16
	ds_store_2addr_b32 v107, v22, v34 offset0:32 offset1:48
	ds_store_2addr_b32 v107, v20, v13 offset0:64 offset1:80
	ds_store_b32 v107, v12 offset:384
	global_wb scope:SCOPE_SE
	s_wait_dscnt 0x0
	s_barrier_signal -1
	s_barrier_wait -1
	global_inv scope:SCOPE_SE
	ds_load_2addr_b32 v[10:11], v72 offset1:56
	ds_load_2addr_b32 v[12:13], v72 offset0:112 offset1:168
	ds_load_2addr_b32 v[14:15], v73 offset0:96 offset1:152
	;; [unrolled: 1-line block ×6, first 2 shown]
	v_mov_b32_e32 v24, v32
	v_lshlrev_b64_e32 v[8:9], 2, v[37:38]
	s_delay_alu instid0(VALU_DEP_2) | instskip(NEXT) | instid1(VALU_DEP_2)
	v_mad_co_u64_u32 v[37:38], null, 0xe0, s5, v[24:25]
	v_add_co_u32 v8, vcc_lo, v40, v8
	s_wait_alu 0xfffd
	s_delay_alu instid0(VALU_DEP_3)
	v_add_co_ci_u32_e32 v9, vcc_lo, v39, v9, vcc_lo
	s_wait_dscnt 0x6
	v_lshrrev_b32_e32 v24, 16, v10
	s_wait_dscnt 0x5
	v_lshrrev_b32_e32 v32, 16, v12
	;; [unrolled: 2-line block ×7, first 2 shown]
	v_lshrrev_b32_e32 v75, 16, v13
	v_lshrrev_b32_e32 v76, 16, v15
	;; [unrolled: 1-line block ×3, first 2 shown]
	v_mul_f16_e32 v92, v83, v12
	v_lshrrev_b32_e32 v93, 16, v36
	v_mul_f16_e32 v94, v84, v14
	v_mul_f16_e32 v95, v85, v20
	;; [unrolled: 1-line block ×5, first 2 shown]
	v_lshrrev_b32_e32 v89, 16, v21
	v_lshrrev_b32_e32 v90, 16, v23
	v_mul_f16_e32 v99, v77, v13
	v_mul_f16_e32 v100, v78, v15
	v_mul_f16_e32 v101, v79, v21
	v_mul_f16_e32 v102, v80, v23
	v_mul_f16_e32 v103, v81, v34
	v_mul_f16_e32 v104, v82, v36
	v_mul_f16_e32 v83, v83, v32
	v_mul_f16_e32 v84, v84, v38
	v_mul_f16_e32 v87, v87, v41
	v_mul_f16_e32 v88, v88, v42
	v_fma_f16 v32, v0, v32, -v92
	v_fma_f16 v38, v1, v38, -v94
	v_mul_f16_e32 v85, v85, v39
	v_fma_f16 v39, v2, v39, -v95
	v_mul_f16_e32 v86, v86, v40
	v_fma_f16 v40, v3, v40, -v96
	v_fma_f16 v41, v18, v41, -v97
	;; [unrolled: 1-line block ×3, first 2 shown]
	v_mul_f16_e32 v77, v77, v75
	v_mul_f16_e32 v78, v78, v76
	;; [unrolled: 1-line block ×4, first 2 shown]
	v_fma_f16 v75, v4, v75, -v99
	v_fma_f16 v76, v5, v76, -v100
	v_mul_f16_e32 v79, v79, v89
	v_fma_f16 v89, v6, v89, -v101
	v_mul_f16_e32 v80, v80, v90
	v_fma_f16 v90, v7, v90, -v102
	v_fma_f16 v91, v16, v91, -v103
	;; [unrolled: 1-line block ×3, first 2 shown]
	v_fmac_f16_e32 v83, v0, v12
	v_fmac_f16_e32 v84, v1, v14
	;; [unrolled: 1-line block ×10, first 2 shown]
	v_add_f16_e32 v0, v32, v42
	v_sub_f16_e32 v1, v32, v42
	v_add_f16_e32 v2, v38, v41
	v_sub_f16_e32 v3, v38, v41
	;; [unrolled: 2-line block ×3, first 2 shown]
	v_fmac_f16_e32 v79, v6, v21
	v_fmac_f16_e32 v80, v7, v23
	v_add_f16_e32 v6, v75, v92
	v_sub_f16_e32 v7, v75, v92
	v_add_f16_e32 v12, v76, v91
	v_sub_f16_e32 v13, v76, v91
	;; [unrolled: 2-line block ×3, first 2 shown]
	v_add_f16_e32 v16, v83, v88
	v_add_f16_e32 v18, v84, v87
	;; [unrolled: 1-line block ×3, first 2 shown]
	v_sub_f16_e32 v23, v2, v0
	v_sub_f16_e32 v0, v0, v4
	;; [unrolled: 1-line block ×3, first 2 shown]
	v_add_f16_e32 v32, v5, v3
	v_sub_f16_e32 v33, v5, v3
	v_sub_f16_e32 v3, v3, v1
	v_add_f16_e32 v34, v77, v82
	v_add_f16_e32 v36, v78, v81
	v_sub_f16_e32 v19, v84, v87
	v_add_f16_e32 v20, v85, v86
	v_sub_f16_e32 v21, v86, v85
	v_sub_f16_e32 v35, v77, v82
	;; [unrolled: 1-line block ×4, first 2 shown]
	v_add_f16_e32 v41, v12, v6
	v_sub_f16_e32 v42, v12, v6
	v_sub_f16_e32 v6, v6, v14
	;; [unrolled: 1-line block ×3, first 2 shown]
	v_add_f16_e32 v75, v15, v13
	v_sub_f16_e32 v76, v15, v13
	v_sub_f16_e32 v13, v13, v7
	v_add_f16_e32 v77, v18, v16
	v_sub_f16_e32 v17, v83, v88
	v_sub_f16_e32 v5, v1, v5
	v_add_f16_e32 v39, v79, v80
	v_add_f16_e32 v4, v4, v22
	;; [unrolled: 1-line block ×3, first 2 shown]
	v_mul_f16_e32 v0, 0x3a52, v0
	v_mul_f16_e32 v22, 0x2b26, v2
	;; [unrolled: 1-line block ×4, first 2 shown]
	v_add_f16_e32 v81, v36, v34
	v_lshrrev_b32_e32 v105, 16, v11
	v_sub_f16_e32 v15, v7, v15
	v_sub_f16_e32 v78, v18, v16
	;; [unrolled: 1-line block ×4, first 2 shown]
	v_add_f16_e32 v79, v21, v19
	v_sub_f16_e32 v80, v21, v19
	v_add_f16_e32 v83, v40, v38
	v_add_f16_e32 v14, v14, v41
	;; [unrolled: 1-line block ×3, first 2 shown]
	v_mul_f16_e32 v6, 0x3a52, v6
	v_mul_f16_e32 v41, 0x2b26, v12
	;; [unrolled: 1-line block ×4, first 2 shown]
	v_add_f16_e32 v20, v20, v77
	v_sub_f16_e32 v19, v19, v17
	v_sub_f16_e32 v82, v36, v34
	;; [unrolled: 1-line block ×4, first 2 shown]
	v_add_f16_e32 v24, v24, v4
	v_fmamk_f16 v2, v2, 0x2b26, v0
	v_fma_f16 v22, v23, 0x39e0, -v22
	v_fma_f16 v0, v23, 0xb9e0, -v0
	v_fmamk_f16 v23, v5, 0xb574, v32
	v_fma_f16 v3, v3, 0xbb00, -v32
	v_fmac_f16_e32 v33, 0x3574, v5
	v_add_f16_e32 v5, v39, v81
	v_sub_f16_e32 v21, v17, v21
	v_sub_f16_e32 v36, v39, v36
	;; [unrolled: 1-line block ×4, first 2 shown]
	v_add_f16_e32 v17, v79, v17
	v_mul_f16_e32 v16, 0x3a52, v16
	v_mul_f16_e32 v79, 0x3846, v80
	v_add_f16_e32 v32, v83, v35
	v_add_f16_e32 v35, v105, v14
	v_fmamk_f16 v12, v12, 0x2b26, v6
	v_fma_f16 v41, v42, 0x39e0, -v41
	v_fma_f16 v6, v42, 0xb9e0, -v6
	v_fmamk_f16 v42, v15, 0xb574, v75
	v_fma_f16 v13, v13, 0xbb00, -v75
	v_fmac_f16_e32 v76, 0x3574, v15
	v_add_f16_e32 v10, v10, v20
	v_mul_f16_e32 v77, 0x2b26, v18
	v_mul_f16_e32 v80, 0x3b00, v19
	v_mul_f16_e32 v34, 0x3a52, v34
	v_mul_f16_e32 v81, 0x3846, v84
	v_fmamk_f16 v4, v4, 0xbcab, v24
	v_fmac_f16_e32 v23, 0xb70e, v1
	v_fmac_f16_e32 v3, 0xb70e, v1
	;; [unrolled: 1-line block ×3, first 2 shown]
	v_add_f16_e32 v1, v11, v5
	v_mul_f16_e32 v39, 0x2b26, v36
	v_mul_f16_e32 v83, 0x3b00, v38
	v_fmamk_f16 v15, v18, 0x2b26, v16
	v_fmamk_f16 v75, v21, 0xb574, v79
	v_fma_f16 v19, v19, 0xbb00, -v79
	v_fmamk_f16 v11, v14, 0xbcab, v35
	v_fmac_f16_e32 v42, 0xb70e, v7
	v_fmac_f16_e32 v13, 0xb70e, v7
	;; [unrolled: 1-line block ×3, first 2 shown]
	v_fmamk_f16 v7, v20, 0xbcab, v10
	v_fma_f16 v18, v78, 0x39e0, -v77
	v_fma_f16 v16, v78, 0xb9e0, -v16
	v_fmac_f16_e32 v80, 0x3574, v21
	v_fmamk_f16 v14, v36, 0x2b26, v34
	v_fmamk_f16 v36, v40, 0xb574, v81
	v_add_f16_e32 v2, v2, v4
	v_add_f16_e32 v20, v22, v4
	;; [unrolled: 1-line block ×3, first 2 shown]
	v_fmamk_f16 v4, v5, 0xbcab, v1
	v_fma_f16 v21, v82, 0x39e0, -v39
	v_fma_f16 v34, v82, 0xb9e0, -v34
	;; [unrolled: 1-line block ×3, first 2 shown]
	v_fmac_f16_e32 v83, 0x3574, v40
	v_fmac_f16_e32 v75, 0xb70e, v17
	;; [unrolled: 1-line block ×3, first 2 shown]
	v_add_f16_e32 v5, v12, v11
	v_add_f16_e32 v12, v41, v11
	;; [unrolled: 1-line block ×4, first 2 shown]
	v_fmac_f16_e32 v80, 0xb70e, v17
	v_add_f16_e32 v15, v18, v7
	v_add_f16_e32 v7, v16, v7
	v_fmac_f16_e32 v36, 0xb70e, v32
	v_add_f16_e32 v14, v14, v4
	v_fmac_f16_e32 v38, 0xb70e, v32
	v_fmac_f16_e32 v83, 0xb70e, v32
	v_sub_f16_e32 v16, v2, v75
	v_add_f16_e32 v18, v19, v20
	v_sub_f16_e32 v19, v20, v19
	v_add_f16_e32 v20, v21, v4
	v_add_f16_e32 v4, v34, v4
	;; [unrolled: 1-line block ×3, first 2 shown]
	v_sub_f16_e32 v17, v0, v80
	v_add_f16_e32 v34, v33, v7
	v_pack_b32_f16 v1, v1, v35
	v_sub_f16_e32 v35, v15, v3
	v_add_f16_e32 v3, v3, v15
	v_add_f16_e32 v0, v80, v0
	v_sub_f16_e32 v21, v5, v36
	v_sub_f16_e32 v7, v7, v33
	v_add_f16_e32 v15, v42, v14
	v_pack_b32_f16 v10, v10, v24
	v_add_f16_e32 v2, v75, v2
	v_sub_f16_e32 v22, v6, v83
	v_add_f16_e32 v24, v38, v12
	v_sub_f16_e32 v12, v12, v38
	v_add_f16_e32 v6, v83, v6
	v_add_f16_e32 v5, v36, v5
	v_sub_f16_e32 v11, v11, v23
	v_add_f16_e32 v23, v76, v4
	v_sub_f16_e32 v33, v20, v13
	;; [unrolled: 2-line block ×3, first 2 shown]
	v_sub_f16_e32 v14, v14, v42
	v_pack_b32_f16 v16, v32, v16
	v_pack_b32_f16 v17, v34, v17
	;; [unrolled: 1-line block ×12, first 2 shown]
	ds_store_b32 v72, v16 offset:448
	ds_store_b32 v72, v17 offset:896
	;; [unrolled: 1-line block ×6, first 2 shown]
	ds_store_2addr_b32 v72, v10, v1 offset1:56
	ds_store_b32 v72, v7 offset:672
	ds_store_b32 v72, v11 offset:1120
	;; [unrolled: 1-line block ×6, first 2 shown]
	global_wb scope:SCOPE_SE
	s_wait_dscnt 0x0
	s_barrier_signal -1
	s_barrier_wait -1
	global_inv scope:SCOPE_SE
	ds_load_2addr_b32 v[6:7], v72 offset1:56
	ds_load_2addr_b32 v[13:14], v74 offset0:80 offset1:136
	ds_load_2addr_b32 v[15:16], v74 offset0:192 offset1:248
	;; [unrolled: 1-line block ×6, first 2 shown]
	v_mov_b32_e32 v32, v37
	v_add_co_u32 v0, vcc_lo, v31, s46
	s_wait_alu 0xfffd
	s_delay_alu instid0(VALU_DEP_2) | instskip(NEXT) | instid1(VALU_DEP_2)
	v_add_co_ci_u32_e32 v1, vcc_lo, s47, v32, vcc_lo
	v_add_co_u32 v2, vcc_lo, v0, s48
	s_wait_alu 0xfffd
	s_delay_alu instid0(VALU_DEP_2) | instskip(NEXT) | instid1(VALU_DEP_2)
	v_add_co_ci_u32_e32 v3, vcc_lo, s49, v1, vcc_lo
	v_add_co_u32 v4, vcc_lo, v2, s46
	s_wait_dscnt 0x6
	v_lshrrev_b32_e32 v10, 16, v6
	v_mul_f16_e32 v24, v68, v6
	s_wait_dscnt 0x5
	v_lshrrev_b32_e32 v33, 16, v14
	v_mul_f16_e32 v34, v69, v14
	v_lshrrev_b32_e32 v35, 16, v7
	v_mul_f16_e32 v36, v58, v7
	v_fma_f16 v24, v50, v10, -v24
	s_wait_dscnt 0x4
	v_lshrrev_b32_e32 v37, 16, v15
	s_wait_dscnt 0x3
	v_lshrrev_b32_e32 v39, 16, v17
	v_lshrrev_b32_e32 v41, 16, v16
	;; [unrolled: 1-line block ×3, first 2 shown]
	s_wait_dscnt 0x2
	v_lshrrev_b32_e32 v73, 16, v19
	s_wait_dscnt 0x1
	v_lshrrev_b32_e32 v75, 16, v22
	v_lshrrev_b32_e32 v77, 16, v20
	s_wait_dscnt 0x0
	v_lshrrev_b32_e32 v83, 16, v11
	v_fma_f16 v34, v51, v33, -v34
	v_mul_f16_e32 v68, v68, v10
	v_mul_f16_e32 v58, v58, v35
	v_cvt_f32_f16_e32 v24, v24
	v_mul_f16_e32 v38, v59, v15
	v_mul_f16_e32 v40, v60, v17
	;; [unrolled: 1-line block ×7, first 2 shown]
	v_lshrrev_b32_e32 v79, 16, v23
	v_mul_f16_e32 v80, v67, v23
	v_lshrrev_b32_e32 v81, 16, v13
	v_mul_f16_e32 v84, v66, v11
	v_mul_f16_e32 v69, v69, v33
	v_fma_f16 v10, v49, v35, -v36
	v_mul_f16_e32 v59, v59, v37
	v_mul_f16_e32 v60, v60, v39
	;; [unrolled: 1-line block ×8, first 2 shown]
	v_cvt_f32_f16_e32 v34, v34
	v_fmac_f16_e32 v68, v50, v6
	v_fmac_f16_e32 v58, v49, v7
	v_cvt_f64_f32_e32 v[6:7], v24
	v_mul_f16_e32 v82, v71, v13
	v_fma_f16 v33, v56, v37, -v38
	v_fma_f16 v36, v48, v39, -v40
	;; [unrolled: 1-line block ×8, first 2 shown]
	v_mul_f16_e32 v70, v71, v81
	v_fma_f16 v35, v52, v83, -v84
	v_cvt_f32_f16_e32 v37, v10
	v_fmac_f16_e32 v69, v51, v14
	v_fmac_f16_e32 v59, v56, v15
	;; [unrolled: 1-line block ×9, first 2 shown]
	v_cvt_f64_f32_e32 v[10:11], v34
	v_mul_f16_e32 v67, v67, v79
	v_fma_f16 v79, v57, v81, -v82
	v_cvt_f32_f16_e32 v33, v33
	v_cvt_f32_f16_e32 v36, v36
	;; [unrolled: 1-line block ×8, first 2 shown]
	v_fmac_f16_e32 v70, v57, v13
	v_cvt_f32_f16_e32 v15, v35
	v_cvt_f64_f32_e32 v[13:14], v37
	v_cvt_f32_f16_e32 v16, v68
	v_cvt_f32_f16_e32 v24, v69
	;; [unrolled: 1-line block ×10, first 2 shown]
	v_fmac_f16_e32 v67, v45, v23
	v_cvt_f64_f32_e32 v[17:18], v33
	v_cvt_f64_f32_e32 v[19:20], v36
	;; [unrolled: 1-line block ×8, first 2 shown]
	v_cvt_f32_f16_e32 v69, v66
	v_cvt_f64_f32_e32 v[45:46], v15
	v_cvt_f64_f32_e32 v[47:48], v16
	;; [unrolled: 1-line block ×11, first 2 shown]
	v_cvt_f32_f16_e32 v67, v67
	v_lshrrev_b32_e32 v21, 16, v12
	v_mul_f64_e32 v[73:74], s[50:51], v[6:7]
	v_cvt_f32_f16_e32 v15, v70
	v_cvt_f64_f32_e32 v[69:70], v69
	v_cvt_f64_f32_e32 v[67:68], v67
	v_mul_f16_e32 v83, v44, v21
	v_mul_f64_e32 v[75:76], s[50:51], v[10:11]
	v_mul_f64_e32 v[77:78], s[50:51], v[13:14]
	v_cvt_f32_f16_e32 v10, v79
	v_cvt_f64_f32_e32 v[71:72], v15
	v_fmac_f16_e32 v83, v43, v12
	s_wait_alu 0xfffd
	v_add_co_ci_u32_e32 v5, vcc_lo, s47, v3, vcc_lo
	v_add_co_u32 v15, vcc_lo, v4, s48
	s_wait_alu 0xfffd
	s_delay_alu instid0(VALU_DEP_2)
	v_add_co_ci_u32_e32 v16, vcc_lo, s49, v5, vcc_lo
	v_mul_f64_e32 v[79:80], s[50:51], v[17:18]
	v_mul_f64_e32 v[23:24], s[50:51], v[22:23]
	v_mul_f64_e32 v[33:34], s[50:51], v[33:34]
	v_cvt_f32_f16_e32 v22, v83
	v_mul_f64_e32 v[83:84], s[50:51], v[35:36]
	v_mul_f64_e32 v[81:82], s[50:51], v[19:20]
	;; [unrolled: 1-line block ×15, first 2 shown]
	v_add_co_u32 v6, vcc_lo, v15, s46
	s_wait_alu 0xfffd
	v_add_co_ci_u32_e32 v7, vcc_lo, s47, v16, vcc_lo
	v_mul_f64_e32 v[17:18], s[50:51], v[69:70]
	v_mul_f64_e32 v[65:66], s[50:51], v[67:68]
	v_and_or_b32 v67, 0x1ff, v74, v73
	v_and_or_b32 v70, 0x1ff, v76, v75
	v_bfe_u32 v69, v74, 20, 11
	v_and_or_b32 v73, 0x1ff, v78, v77
	v_mul_f64_e32 v[41:42], s[50:51], v[41:42]
	v_cmp_ne_u32_e32 vcc_lo, 0, v67
	v_cvt_f64_f32_e32 v[19:20], v10
	v_mul_f64_e32 v[10:11], s[50:51], v[71:72]
	v_bfe_u32 v72, v76, 20, 11
	v_bfe_u32 v77, v78, 20, 11
	s_wait_alu 0xfffd
	v_cndmask_b32_e64 v67, 0, 1, vcc_lo
	v_cmp_ne_u32_e32 vcc_lo, 0, v70
	v_lshrrev_b32_e32 v68, 8, v74
	v_and_or_b32 v79, 0x1ff, v80, v79
	v_and_or_b32 v93, 0x1ff, v24, v23
	;; [unrolled: 1-line block ×3, first 2 shown]
	v_lshrrev_b32_e32 v97, 8, v34
	v_bfe_u32 v98, v34, 20, 11
	v_and_or_b32 v83, 0x1ff, v84, v83
	v_lshrrev_b32_e32 v99, 8, v84
	v_bfe_u32 v100, v84, 20, 11
	v_lshrrev_b32_e32 v35, 16, v34
	v_lshrrev_b32_e32 v34, 16, v84
	v_sub_nc_u32_e32 v84, 0x3f1, v69
	v_and_or_b32 v116, 0x1ff, v48, v47
	v_and_or_b32 v122, 0x1ff, v52, v51
	v_lshrrev_b32_e32 v123, 8, v52
	v_bfe_u32 v124, v52, 20, 11
	v_lshrrev_b32_e32 v47, 16, v52
	v_and_or_b32 v81, 0x1ff, v82, v81
	v_and_or_b32 v85, 0x1ff, v86, v85
	;; [unrolled: 1-line block ×3, first 2 shown]
	v_lshrrev_b32_e32 v141, 8, v64
	v_bfe_u32 v142, v64, 20, 11
	v_lshrrev_b32_e32 v52, 16, v64
	v_add_nc_u32_e32 v64, 0xfffffc10, v69
	s_wait_alu 0xfffd
	v_cndmask_b32_e64 v69, 0, 1, vcc_lo
	v_cmp_ne_u32_e32 vcc_lo, 0, v73
	v_lshrrev_b32_e32 v101, 8, v86
	v_bfe_u32 v102, v86, 20, 11
	v_lshrrev_b32_e32 v33, 16, v86
	v_sub_nc_u32_e32 v86, 0x3f1, v72
	s_wait_alu 0xfffd
	v_cndmask_b32_e64 v70, 0, 1, vcc_lo
	v_cmp_ne_u32_e32 vcc_lo, 0, v79
	v_add_nc_u32_e32 v63, 0xfffffc10, v72
	v_lshrrev_b32_e32 v94, 8, v24
	v_bfe_u32 v95, v24, 20, 11
	v_and_or_b32 v87, 0x1ff, v88, v87
	s_wait_alu 0xfffd
	v_cndmask_b32_e64 v72, 0, 1, vcc_lo
	v_cmp_ne_u32_e32 vcc_lo, 0, v81
	v_lshrrev_b32_e32 v103, 8, v88
	v_bfe_u32 v104, v88, 20, 11
	v_lshrrev_b32_e32 v36, 16, v24
	v_lshrrev_b32_e32 v24, 16, v88
	s_wait_alu 0xfffd
	v_cndmask_b32_e64 v73, 0, 1, vcc_lo
	v_cmp_ne_u32_e32 vcc_lo, 0, v93
	v_sub_nc_u32_e32 v88, 0x3f1, v77
	v_and_or_b32 v137, 0x1ff, v62, v61
	v_lshrrev_b32_e32 v138, 8, v62
	v_bfe_u32 v139, v62, 20, 11
	v_lshrrev_b32_e32 v51, 16, v62
	v_add_nc_u32_e32 v62, 0xfffffc10, v77
	s_wait_alu 0xfffd
	v_cndmask_b32_e64 v77, 0, 1, vcc_lo
	v_cmp_ne_u32_e32 vcc_lo, 0, v96
	v_and_or_b32 v105, 0x1ff, v42, v41
	v_lshrrev_b32_e32 v41, 16, v74
	v_and_or_b32 v74, 0x1ff, v14, v13
	v_lshrrev_b32_e32 v71, 8, v76
	s_wait_alu 0xfffd
	v_cndmask_b32_e64 v79, 0, 1, vcc_lo
	v_cmp_ne_u32_e32 vcc_lo, 0, v83
	v_bfe_u32 v90, v80, 20, 11
	v_lshrrev_b32_e32 v40, 16, v76
	v_and_or_b32 v76, 0x1ff, v46, v45
	v_lshrrev_b32_e32 v106, 8, v42
	s_wait_alu 0xfffd
	v_cndmask_b32_e64 v81, 0, 1, vcc_lo
	v_cmp_ne_u32_e32 vcc_lo, 0, v85
	v_sub_nc_u32_e32 v108, 0x3f1, v90
	v_add_nc_u32_e32 v61, 0xfffffc10, v90
	v_and_or_b32 v119, 0x1ff, v50, v49
	v_lshrrev_b32_e32 v75, 8, v78
	s_wait_alu 0xfffd
	v_cndmask_b32_e64 v83, 0, 1, vcc_lo
	v_cmp_ne_u32_e32 vcc_lo, 0, v87
	v_bfe_u32 v92, v82, 20, 11
	v_sub_nc_u32_e32 v110, 0x3f1, v95
	v_bfe_u32 v118, v48, 20, 11
	v_and_or_b32 v125, 0x1ff, v54, v53
	s_wait_alu 0xfffd
	v_cndmask_b32_e64 v85, 0, 1, vcc_lo
	v_cmp_ne_u32_e32 vcc_lo, 0, v105
	v_lshrrev_b32_e32 v91, 8, v82
	v_bfe_u32 v107, v42, 20, 11
	v_lshrrev_b32_e32 v39, 16, v78
	v_lshrrev_b32_e32 v37, 16, v82
	s_wait_alu 0xfffd
	v_cndmask_b32_e64 v87, 0, 1, vcc_lo
	v_cmp_ne_u32_e32 vcc_lo, 0, v74
	v_lshrrev_b32_e32 v23, 16, v42
	v_lshrrev_b32_e32 v82, 8, v46
	v_bfe_u32 v78, v46, 20, 11
	v_and_or_b32 v87, 0xffe, v106, v87
	s_wait_alu 0xfffd
	v_cndmask_b32_e64 v90, 0, 1, vcc_lo
	v_cmp_ne_u32_e32 vcc_lo, 0, v76
	v_sub_nc_u32_e32 v109, 0x3f1, v92
	v_sub_nc_u32_e32 v111, 0x3f1, v98
	v_lshrrev_b32_e32 v120, 8, v50
	v_bfe_u32 v121, v50, 20, 11
	s_wait_alu 0xfffd
	v_cndmask_b32_e64 v106, 0, 1, vcc_lo
	v_cmp_ne_u32_e32 vcc_lo, 0, v116
	v_and_or_b32 v128, 0x1ff, v56, v55
	v_and_or_b32 v134, 0x1ff, v60, v59
	v_lshrrev_b32_e32 v135, 8, v60
	v_bfe_u32 v136, v60, 20, 11
	s_wait_alu 0xfffd
	v_cndmask_b32_e64 v116, 0, 1, vcc_lo
	v_cmp_ne_u32_e32 vcc_lo, 0, v119
	v_lshrrev_b32_e32 v42, 16, v46
	v_lshrrev_b32_e32 v46, 16, v50
	;; [unrolled: 1-line block ×3, first 2 shown]
	v_add_nc_u32_e32 v60, 0xfffffc10, v92
	s_wait_alu 0xfffd
	v_cndmask_b32_e64 v119, 0, 1, vcc_lo
	v_cmp_ne_u32_e32 vcc_lo, 0, v122
	v_add_nc_u32_e32 v59, 0xfffffc10, v95
	v_med3_i32 v92, v108, 0, 13
	v_med3_i32 v95, v110, 0, 13
	v_and_or_b32 v108, 0xffe, v75, v70
	v_sub_nc_u32_e32 v110, 0x3f1, v118
	v_add_nc_u32_e32 v75, 0xfffffc10, v118
	s_wait_alu 0xfffd
	v_cndmask_b32_e64 v118, 0, 1, vcc_lo
	v_cmp_ne_u32_e32 vcc_lo, 0, v125
	v_and_or_b32 v131, 0x1ff, v58, v57
	v_med3_i32 v96, v111, 0, 13
	v_sub_nc_u32_e32 v111, 0x3f1, v121
	v_add_nc_u32_e32 v76, 0xfffffc10, v121
	s_wait_alu 0xfffd
	v_cndmask_b32_e64 v121, 0, 1, vcc_lo
	v_cmp_ne_u32_e32 vcc_lo, 0, v128
	v_sub_nc_u32_e32 v112, 0x3f1, v100
	v_lshrrev_b32_e32 v132, 8, v58
	v_bfe_u32 v133, v58, 20, 11
	v_lshrrev_b32_e32 v49, 16, v58
	s_wait_alu 0xfffd
	v_cndmask_b32_e64 v122, 0, 1, vcc_lo
	v_cmp_ne_u32_e32 vcc_lo, 0, v131
	v_add_nc_u32_e32 v58, 0xfffffc10, v98
	v_med3_i32 v98, v112, 0, 13
	v_and_or_b32 v91, 0xffe, v91, v73
	v_sub_nc_u32_e32 v112, 0x3f1, v124
	v_add_nc_u32_e32 v73, 0xfffffc10, v124
	s_wait_alu 0xfffd
	v_cndmask_b32_e64 v124, 0, 1, vcc_lo
	v_cmp_ne_u32_e32 vcc_lo, 0, v134
	v_bfe_u32 v127, v54, 20, 11
	v_bfe_u32 v13, v14, 20, 11
	v_and_or_b32 v143, 0x1ff, v66, v65
	v_and_or_b32 v94, 0xffe, v94, v77
	s_wait_alu 0xfffd
	v_cndmask_b32_e64 v125, 0, 1, vcc_lo
	v_cmp_ne_u32_e32 vcc_lo, 0, v137
	v_and_or_b32 v97, 0xffe, v97, v79
	v_sub_nc_u32_e32 v79, 0x3f1, v127
	v_add_nc_u32_e32 v77, 0xfffffc10, v127
	v_lshrrev_b32_e32 v89, 8, v80
	s_wait_alu 0xfffd
	v_cndmask_b32_e64 v127, 0, 1, vcc_lo
	v_cmp_ne_u32_e32 vcc_lo, 0, v140
	v_lshrrev_b32_e32 v38, 16, v80
	v_lshrrev_b32_e32 v80, 8, v14
	;; [unrolled: 1-line block ×3, first 2 shown]
	v_bfe_u32 v65, v66, 20, 11
	v_and_or_b32 v145, 0x1ff, v18, v17
	v_lshrrev_b32_e32 v53, 16, v66
	v_sub_nc_u32_e32 v66, 0x3f1, v13
	s_wait_alu 0xfffd
	v_cndmask_b32_e64 v128, 0, 1, vcc_lo
	v_cmp_ne_u32_e32 vcc_lo, 0, v143
	v_sub_nc_u32_e32 v113, 0x3f1, v102
	v_lshrrev_b32_e32 v117, 8, v48
	v_lshrrev_b32_e32 v129, 8, v56
	v_bfe_u32 v130, v56, 20, 11
	v_lshrrev_b32_e32 v45, 16, v48
	v_lshrrev_b32_e32 v48, 16, v56
	v_add_nc_u32_e32 v56, 0xfffffc10, v102
	v_and_or_b32 v102, 0xffe, v68, v67
	v_and_or_b32 v83, 0xffe, v101, v83
	v_med3_i32 v67, v66, 0, 13
	v_and_or_b32 v66, 0xffe, v80, v90
	s_wait_alu 0xfffd
	v_cndmask_b32_e64 v80, 0, 1, vcc_lo
	v_cmp_ne_u32_e32 vcc_lo, 0, v145
	v_sub_nc_u32_e32 v115, 0x3f1, v107
	v_lshrrev_b32_e32 v126, 8, v54
	v_lshrrev_b32_e32 v17, 16, v54
	;; [unrolled: 1-line block ×3, first 2 shown]
	v_add_nc_u32_e32 v54, 0xfffffc10, v107
	v_sub_nc_u32_e32 v107, 0x3f1, v78
	s_wait_alu 0xfffd
	v_cndmask_b32_e64 v90, 0, 1, vcc_lo
	v_cmp_ne_u32_e32 vcc_lo, 0, v83
	v_and_or_b32 v105, 0xffe, v71, v69
	v_and_or_b32 v82, 0xffe, v82, v106
	v_med3_i32 v106, v107, 0, 13
	v_and_or_b32 v107, 0xffe, v117, v116
	v_and_or_b32 v116, 0xffe, v120, v119
	v_med3_i32 v119, v79, 0, 13
	v_and_or_b32 v79, 0xffe, v146, v90
	s_wait_alu 0xfffd
	v_cndmask_b32_e64 v90, 0, 1, vcc_lo
	v_cmp_ne_u32_e32 vcc_lo, 0, v102
	v_and_or_b32 v117, 0xffe, v123, v118
	v_and_or_b32 v118, 0xffe, v126, v121
	;; [unrolled: 1-line block ×4, first 2 shown]
	s_wait_alu 0xfffd
	v_cndmask_b32_e64 v127, 0, 1, vcc_lo
	v_cmp_ne_u32_e32 vcc_lo, 0, v105
	v_and_or_b32 v89, 0xffe, v89, v72
	v_and_or_b32 v120, 0xffe, v129, v122
	;; [unrolled: 1-line block ×4, first 2 shown]
	s_wait_alu 0xfffd
	v_cndmask_b32_e64 v128, 0, 1, vcc_lo
	v_cmp_ne_u32_e32 vcc_lo, 0, v108
	v_sub_nc_u32_e32 v114, 0x3f1, v104
	v_and_or_b32 v81, 0xffe, v99, v81
	v_add_nc_u32_e32 v57, 0xfffffc10, v100
	v_add_nc_u32_e32 v55, 0xfffffc10, v104
	s_wait_alu 0xfffd
	v_cndmask_b32_e64 v129, 0, 1, vcc_lo
	v_cmp_ne_u32_e32 vcc_lo, 0, v89
	v_med3_i32 v100, v113, 0, 13
	v_med3_i32 v104, v114, 0, 13
	v_sub_nc_u32_e32 v114, 0x3f1, v142
	v_add_nc_u32_e32 v72, 0xfffffc10, v142
	s_wait_alu 0xfffd
	v_cndmask_b32_e64 v132, 0, 1, vcc_lo
	v_cmp_ne_u32_e32 vcc_lo, 0, v91
	v_or_b32_e32 v140, 0x1000, v81
	v_or_b32_e32 v142, 0x1000, v83
	v_bfe_u32 v147, v18, 20, 11
	v_med3_i32 v86, v86, 0, 13
	s_wait_alu 0xfffd
	v_cndmask_b32_e64 v135, 0, 1, vcc_lo
	v_cmp_ne_u32_e32 vcc_lo, 0, v94
	v_and_or_b32 v85, 0xffe, v103, v85
	v_or_b32_e32 v131, 0x1000, v105
	v_lshrrev_b32_e32 v156, v98, v140
	v_lshrrev_b32_e32 v157, v100, v142
	s_wait_alu 0xfffd
	v_cndmask_b32_e64 v138, 0, 1, vcc_lo
	v_cmp_ne_u32_e32 vcc_lo, 0, v97
	v_sub_nc_u32_e32 v148, 0x3f1, v147
	v_or_b32_e32 v143, 0x1000, v85
	v_and_or_b32 v126, 0xffe, v144, v80
	v_lshrrev_b32_e32 v150, v86, v131
	s_wait_alu 0xfffd
	v_cndmask_b32_e64 v141, 0, 1, vcc_lo
	v_cmp_ne_u32_e32 vcc_lo, 0, v81
	v_lshlrev_b32_e32 v98, v98, v156
	v_lshlrev_b32_e32 v100, v100, v157
	v_cmp_ne_u32_e64 s5, 0, v82
	v_cmp_ne_u32_e64 s6, 0, v107
	s_wait_alu 0xfffd
	v_cndmask_b32_e64 v144, 0, 1, vcc_lo
	v_cmp_ne_u32_e32 vcc_lo, 0, v85
	v_med3_i32 v93, v109, 0, 13
	v_med3_i32 v109, v115, 0, 13
	v_sub_nc_u32_e32 v101, 0x3f1, v136
	v_add_nc_u32_e32 v71, 0xfffffc10, v136
	v_or_b32_e32 v134, 0x1000, v89
	v_or_b32_e32 v136, 0x1000, v91
	;; [unrolled: 1-line block ×3, first 2 shown]
	v_med3_i32 v123, v148, 0, 13
	s_wait_alu 0xfffd
	v_cndmask_b32_e64 v146, 0, 1, vcc_lo
	v_cmp_ne_u32_e32 vcc_lo, 0, v87
	v_lshl_or_b32 v148, v57, 12, v81
	v_lshlrev_b32_e32 v81, v86, v150
	v_lshrrev_b32_e32 v86, v104, v143
	v_cmp_ne_u32_e64 s4, v98, v140
	s_wait_alu 0xf1ff
	v_cndmask_b32_e64 v140, 0, 1, s5
	v_cmp_ne_u32_e64 s5, v100, v142
	v_cndmask_b32_e64 v100, 0, 1, s6
	v_sub_nc_u32_e32 v115, 0x3f1, v65
	v_med3_i32 v110, v110, 0, 13
	v_lshrrev_b32_e32 v152, v92, v134
	v_lshrrev_b32_e32 v153, v93, v136
	;; [unrolled: 1-line block ×3, first 2 shown]
	v_lshlrev_b32_e32 v104, v104, v86
	v_cmp_ne_u32_e64 s6, 0, v116
	v_lshl_or_b32 v100, v100, 9, 0x7c00
	v_add_nc_u32_e32 v69, 0xfffffc10, v65
	v_add_nc_u32_e32 v65, 0xfffffc10, v147
	s_wait_alu 0xfffd
	v_cndmask_b32_e64 v147, 0, 1, vcc_lo
	v_cmp_ne_u32_e32 vcc_lo, v81, v131
	v_or_b32_e32 v81, 0x1000, v107
	v_sub_nc_u32_e32 v113, 0x3f1, v130
	v_sub_nc_u32_e32 v103, 0x3f1, v139
	v_add_nc_u32_e32 v68, 0xfffffc10, v139
	v_or_b32_e32 v137, 0x1000, v94
	v_or_b32_e32 v139, 0x1000, v97
	v_lshlrev_b32_e32 v92, v92, v152
	v_lshlrev_b32_e32 v93, v93, v153
	s_wait_alu 0xf1ff
	v_cndmask_b32_e64 v142, 0, 1, s6
	v_lshlrev_b32_e32 v109, v109, v158
	v_cmp_ne_u32_e64 s6, v104, v143
	v_lshrrev_b32_e32 v104, v110, v81
	v_cmp_ne_u32_e64 s7, 0, v117
	v_med3_i32 v112, v112, 0, 13
	v_med3_i32 v113, v113, 0, 13
	v_lshrrev_b32_e32 v154, v95, v137
	v_lshrrev_b32_e32 v155, v96, v139
	v_cmp_ne_u32_e64 s0, v92, v134
	v_or_b32_e32 v92, 0x1000, v117
	v_cmp_ne_u32_e64 s1, v93, v136
	v_or_b32_e32 v93, 0x1000, v120
	s_wait_alu 0xf1ff
	v_cndmask_b32_e64 v143, 0, 1, s7
	v_cmp_ne_u32_e64 s7, v109, v145
	v_lshlrev_b32_e32 v109, v110, v104
	v_cmp_ne_u32_e64 s8, 0, v118
	v_lshlrev_b32_e32 v95, v95, v154
	v_lshlrev_b32_e32 v96, v96, v155
	v_lshrrev_b32_e32 v110, v112, v92
	v_med3_i32 v101, v101, 0, 13
	v_cndmask_b32_e64 v145, 0, 1, s8
	v_cmp_ne_u32_e64 s8, v109, v81
	v_lshrrev_b32_e32 v109, v113, v93
	v_med3_i32 v114, v114, 0, 13
	v_cmp_ne_u32_e64 s2, v95, v137
	v_or_b32_e32 v95, 0x1000, v122
	v_cmp_ne_u32_e64 s3, v96, v139
	v_or_b32_e32 v96, 0x1000, v125
	v_lshlrev_b32_e32 v81, v112, v110
	v_cmp_ne_u32_e64 s9, 0, v120
	v_lshlrev_b32_e32 v113, v113, v109
	v_cmp_ne_u32_e64 s10, 0, v121
	v_med3_i32 v84, v84, 0, 13
	v_add_nc_u32_e32 v74, 0xfffffc10, v130
	s_wait_alu 0xf1ff
	v_cndmask_b32_e64 v112, 0, 1, s9
	v_cmp_ne_u32_e64 s9, v81, v92
	v_lshrrev_b32_e32 v92, v101, v95
	v_cndmask_b32_e64 v160, 0, 1, s10
	v_cmp_ne_u32_e64 s10, v113, v93
	v_lshrrev_b32_e32 v93, v114, v96
	v_or_b32_e32 v130, 0x1000, v102
	v_med3_i32 v115, v115, 0, 13
	v_or_b32_e32 v139, 0x1000, v126
	v_or_b32_e32 v98, 0x1000, v79
	v_lshlrev_b32_e32 v81, v101, v92
	v_cmp_ne_u32_e64 s11, 0, v122
	v_lshlrev_b32_e32 v114, v114, v93
	v_cmp_ne_u32_e64 s12, 0, v124
	v_med3_i32 v88, v88, 0, 13
	v_sub_nc_u32_e32 v99, 0x3f1, v133
	v_add_nc_u32_e32 v70, 0xfffffc10, v133
	v_or_b32_e32 v133, 0x1000, v108
	v_lshrrev_b32_e32 v149, v84, v130
	v_or_b32_e32 v134, 0x1000, v118
	s_wait_alu 0xf1ff
	v_cndmask_b32_e64 v101, 0, 1, s11
	v_lshl_or_b32 v113, v77, 12, v118
	v_cmp_ne_u32_e64 s11, v81, v95
	v_cndmask_b32_e64 v95, 0, 1, s12
	v_lshrrev_b32_e32 v118, v115, v139
	v_cmp_ne_u32_e64 s12, v114, v96
	v_lshrrev_b32_e32 v96, v123, v98
	v_cmp_ne_u32_e64 s15, 0, v125
	v_lshrrev_b32_e32 v151, v88, v133
	v_or_b32_e32 v159, 0x1000, v82
	v_lshlrev_b32_e32 v81, v115, v118
	v_lshl_or_b32 v115, v71, 12, v122
	v_lshlrev_b32_e32 v122, v123, v96
	v_lshl_or_b32 v123, v72, 12, v125
	s_wait_alu 0xf1ff
	v_cndmask_b32_e64 v125, 0, 1, s15
	v_lshlrev_b32_e32 v84, v84, v149
	v_cmp_ne_u32_e64 s15, 0, v126
	v_med3_i32 v111, v111, 0, 13
	v_or_b32_e32 v131, 0x1000, v116
	v_or_b32_e32 v136, 0x1000, v121
	;; [unrolled: 1-line block ×3, first 2 shown]
	v_lshl_or_b32 v114, v70, 12, v121
	v_lshl_or_b32 v121, v68, 12, v124
	;; [unrolled: 1-line block ×3, first 2 shown]
	v_cmp_ne_u32_e64 s14, v122, v98
	v_lshl_or_b32 v98, v127, 9, 0x7c00
	v_lshl_or_b32 v122, v128, 9, 0x7c00
	;; [unrolled: 1-line block ×10, first 2 shown]
	s_wait_alu 0xf1ff
	v_cndmask_b32_e64 v126, 0, 1, s15
	v_lshlrev_b32_e32 v88, v88, v151
	v_lshrrev_b32_e32 v146, v106, v159
	v_cmp_ne_u32_e64 s15, v84, v130
	s_wait_alu 0xfffd
	v_cndmask_b32_e64 v130, 0, 1, vcc_lo
	v_cndmask_b32_e64 v147, 0, 1, s0
	v_cmp_ne_u32_e32 vcc_lo, v88, v133
	v_lshrrev_b32_e32 v88, v111, v131
	s_wait_alu 0xf1ff
	v_cndmask_b32_e64 v84, 0, 1, s15
	v_or_b32_e32 v130, v150, v130
	v_cndmask_b32_e64 v150, 0, 1, s2
	v_or_b32_e32 v147, v152, v147
	v_cndmask_b32_e64 v152, 0, 1, s4
	v_lshlrev_b32_e32 v106, v106, v146
	v_med3_i32 v99, v99, 0, 13
	s_wait_alu 0xfffd
	v_cndmask_b32_e64 v133, 0, 1, vcc_lo
	v_or_b32_e32 v84, v149, v84
	v_cndmask_b32_e64 v149, 0, 1, s1
	v_or_b32_e32 v150, v154, v150
	v_cndmask_b32_e64 v154, 0, 1, s6
	v_or_b32_e32 v152, v156, v152
	v_lshrrev_b32_e32 v156, v119, v134
	v_lshlrev_b32_e32 v111, v111, v88
	v_cmp_ne_u32_e32 vcc_lo, v106, v159
	v_med3_i32 v103, v103, 0, 13
	v_or_b32_e32 v149, v153, v149
	v_cndmask_b32_e64 v153, 0, 1, s5
	v_or_b32_e32 v86, v86, v154
	v_lshrrev_b32_e32 v154, v99, v136
	v_lshlrev_b32_e32 v119, v119, v156
	s_wait_alu 0xfffd
	v_cndmask_b32_e64 v106, 0, 1, vcc_lo
	v_cmp_ne_u32_e32 vcc_lo, v111, v131
	v_or_b32_e32 v153, v157, v153
	v_lshrrev_b32_e32 v157, v103, v137
	v_lshlrev_b32_e32 v99, v99, v154
	v_lshl_or_b32 v102, v64, 12, v102
	s_wait_alu 0xfffd
	v_cndmask_b32_e64 v111, 0, 1, vcc_lo
	v_cmp_ne_u32_e32 vcc_lo, v119, v134
	v_lshlrev_b32_e32 v103, v103, v157
	v_lshl_or_b32 v105, v63, 12, v105
	v_lshl_or_b32 v108, v62, 12, v108
	v_or_b32_e32 v133, v151, v133
	s_wait_alu 0xfffd
	v_cndmask_b32_e64 v119, 0, 1, vcc_lo
	v_cmp_ne_u32_e32 vcc_lo, v99, v136
	v_lshl_or_b32 v89, v61, 12, v89
	v_lshl_or_b32 v91, v60, 12, v91
	;; [unrolled: 1-line block ×3, first 2 shown]
	v_cndmask_b32_e64 v151, 0, 1, s3
	s_wait_alu 0xfffd
	v_cndmask_b32_e64 v99, 0, 1, vcc_lo
	v_cmp_ne_u32_e32 vcc_lo, v103, v137
	v_lshl_or_b32 v97, v58, 12, v97
	v_lshl_or_b32 v83, v56, 12, v83
	v_or_b32_e32 v151, v155, v151
	v_or_b32_e32 v88, v88, v111
	s_wait_alu 0xfffd
	v_cndmask_b32_e64 v103, 0, 1, vcc_lo
	v_cmp_gt_i32_e32 vcc_lo, 1, v64
	v_or_b32_e32 v111, v156, v119
	v_lshl_or_b32 v85, v55, 12, v85
	v_cndmask_b32_e64 v155, 0, 1, s7
	v_lshl_or_b32 v87, v54, 12, v87
	s_wait_alu 0xfffd
	v_cndmask_b32_e32 v84, v102, v84, vcc_lo
	v_cmp_gt_i32_e32 vcc_lo, 1, v63
	v_lshl_or_b32 v95, v95, 9, 0x7c00
	v_add_nc_u32_e32 v78, 0xfffffc10, v78
	v_or_b32_e32 v155, v158, v155
	v_cndmask_b32_e64 v159, 0, 1, s8
	s_wait_alu 0xfffd
	v_cndmask_b32_e32 v105, v105, v130, vcc_lo
	v_cmp_gt_i32_e32 vcc_lo, 1, v62
	v_lshl_or_b32 v82, v78, 12, v82
	v_or_b32_e32 v106, v146, v106
	v_lshl_or_b32 v107, v75, 12, v107
	v_cndmask_b32_e64 v102, 0, 1, s14
	s_wait_alu 0xfffd
	v_cndmask_b32_e32 v108, v108, v133, vcc_lo
	v_cmp_gt_i32_e32 vcc_lo, 1, v61
	v_or_b32_e32 v104, v104, v159
	v_lshl_or_b32 v116, v76, 12, v116
	v_cndmask_b32_e64 v131, 0, 1, s9
	v_or_b32_e32 v96, v96, v102
	s_wait_alu 0xfffd
	v_cndmask_b32_e32 v89, v89, v147, vcc_lo
	v_cmp_gt_i32_e32 vcc_lo, 1, v60
	v_lshl_or_b32 v117, v73, 12, v117
	v_or_b32_e32 v110, v110, v131
	v_cndmask_b32_e64 v134, 0, 1, s10
	v_lshl_or_b32 v120, v74, 12, v120
	s_wait_alu 0xfffd
	v_cndmask_b32_e32 v91, v91, v149, vcc_lo
	v_cmp_gt_i32_e32 vcc_lo, 1, v59
	v_cndmask_b32_e64 v136, 0, 1, s11
	v_or_b32_e32 v109, v109, v134
	v_or_b32_e32 v99, v154, v99
	v_cmp_ne_u32_e64 s13, v81, v139
	s_wait_alu 0xfffd
	v_cndmask_b32_e32 v94, v94, v150, vcc_lo
	v_cmp_gt_i32_e32 vcc_lo, 1, v58
	v_or_b32_e32 v92, v92, v136
	v_cndmask_b32_e64 v137, 0, 1, s12
	v_or_b32_e32 v103, v157, v103
	s_wait_alu 0xf1ff
	v_cndmask_b32_e64 v146, 0, 1, s13
	s_wait_alu 0xfffd
	v_cndmask_b32_e32 v97, v97, v151, vcc_lo
	v_cmp_gt_i32_e32 vcc_lo, 1, v57
	v_or_b32_e32 v93, v93, v137
	v_lshl_or_b32 v139, v65, 12, v79
	v_lshl_or_b32 v90, v90, 9, 0x7c00
	;; [unrolled: 1-line block ×3, first 2 shown]
	s_wait_alu 0xfffd
	v_cndmask_b32_e32 v119, v148, v152, vcc_lo
	v_cmp_gt_i32_e32 vcc_lo, 1, v56
	v_lshl_or_b32 v142, v142, 9, 0x7c00
	v_lshl_or_b32 v143, v143, 9, 0x7c00
	v_lshl_or_b32 v145, v145, 9, 0x7c00
	v_lshl_or_b32 v112, v112, 9, 0x7c00
	s_wait_alu 0xfffd
	v_cndmask_b32_e32 v83, v83, v153, vcc_lo
	v_cmp_gt_i32_e32 vcc_lo, 1, v55
	v_lshl_or_b32 v158, v160, 9, 0x7c00
	v_lshl_or_b32 v101, v101, 9, 0x7c00
	v_or_b32_e32 v80, 0x1000, v66
	v_lshl_or_b32 v125, v125, 9, 0x7c00
	s_wait_alu 0xfffd
	v_cndmask_b32_e32 v85, v85, v86, vcc_lo
	v_cmp_gt_i32_e32 vcc_lo, 1, v54
	v_or_b32_e32 v86, v118, v146
	v_and_b32_e32 v118, 7, v83
	v_lshrrev_b32_e32 v83, 2, v83
	v_and_or_b32 v10, 0x1ff, v11, v10
	s_wait_alu 0xfffd
	v_cndmask_b32_e32 v87, v87, v155, vcc_lo
	v_cmp_gt_i32_e32 vcc_lo, 1, v78
	v_cmp_lt_i32_e64 s15, 5, v118
	v_cmp_eq_u32_e64 s16, 3, v118
	v_lshrrev_b32_e32 v81, v67, v80
	v_lshl_or_b32 v126, v126, 9, 0x7c00
	s_wait_alu 0xfffd
	v_cndmask_b32_e32 v82, v82, v106, vcc_lo
	v_cmp_gt_i32_e32 vcc_lo, 1, v75
	s_or_b32 s15, s16, s15
	v_lshrrev_b32_e32 v14, 16, v14
	s_wait_alu 0xfffe
	v_add_co_ci_u32_e64 v83, s15, 0, v83, s15
	s_wait_alu 0xfffd
	v_cndmask_b32_e32 v102, v107, v104, vcc_lo
	v_cmp_gt_i32_e32 vcc_lo, 1, v76
	v_lshrrev_b32_e32 v18, 16, v18
	s_wait_alu 0xfffd
	v_cndmask_b32_e32 v88, v116, v88, vcc_lo
	v_cmp_gt_i32_e32 vcc_lo, 1, v73
	v_and_b32_e32 v116, 7, v97
	v_lshrrev_b32_e32 v97, 2, v97
	s_wait_alu 0xfffd
	v_cndmask_b32_e32 v104, v117, v110, vcc_lo
	v_cmp_gt_i32_e32 vcc_lo, 1, v77
	v_and_b32_e32 v110, 7, v105
	v_lshrrev_b32_e32 v105, 2, v105
	v_and_b32_e32 v117, 7, v119
	v_cmp_lt_i32_e64 s11, 5, v116
	s_wait_alu 0xfffd
	v_cndmask_b32_e32 v106, v113, v111, vcc_lo
	v_cmp_gt_i32_e32 vcc_lo, 1, v74
	v_and_b32_e32 v111, 7, v108
	v_cmp_lt_i32_e64 s1, 5, v110
	v_cmp_eq_u32_e64 s2, 3, v110
	v_and_b32_e32 v113, 7, v89
	s_wait_alu 0xfffd
	v_cndmask_b32_e32 v107, v120, v109, vcc_lo
	v_cmp_gt_i32_e32 vcc_lo, 1, v70
	v_and_b32_e32 v109, 7, v84
	v_lshrrev_b32_e32 v84, 2, v84
	v_cmp_lt_i32_e64 s3, 5, v111
	v_cmp_eq_u32_e64 s4, 3, v111
	s_wait_alu 0xfffd
	v_cndmask_b32_e32 v99, v114, v99, vcc_lo
	v_cmp_gt_i32_e32 vcc_lo, 1, v71
	v_cmp_eq_u32_e64 s0, 3, v109
	v_and_b32_e32 v114, 7, v91
	v_lshrrev_b32_e32 v108, 2, v108
	v_cmp_lt_i32_e64 s5, 5, v113
	s_wait_alu 0xfffd
	v_cndmask_b32_e32 v92, v115, v92, vcc_lo
	v_cmp_gt_i32_e32 vcc_lo, 1, v68
	v_cmp_eq_u32_e64 s6, 3, v113
	v_and_b32_e32 v115, 7, v94
	v_lshrrev_b32_e32 v89, 2, v89
	v_cmp_lt_i32_e64 s7, 5, v114
	s_wait_alu 0xfffd
	v_cndmask_b32_e32 v103, v121, v103, vcc_lo
	v_cmp_gt_i32_e32 vcc_lo, 1, v72
	v_cmp_eq_u32_e64 s8, 3, v114
	v_lshrrev_b32_e32 v91, 2, v91
	v_cmp_lt_i32_e64 s9, 5, v115
	v_cmp_eq_u32_e64 s10, 3, v115
	s_wait_alu 0xfffd
	v_cndmask_b32_e32 v93, v123, v93, vcc_lo
	v_cmp_gt_i32_e32 vcc_lo, 1, v69
	v_lshrrev_b32_e32 v94, 2, v94
	v_cmp_eq_u32_e64 s12, 3, v116
	v_and_b32_e32 v120, 7, v85
	v_cmp_lt_i32_e64 s13, 5, v117
	s_wait_alu 0xfffd
	v_cndmask_b32_e32 v86, v124, v86, vcc_lo
	v_cmp_gt_i32_e32 vcc_lo, 1, v65
	v_cmp_eq_u32_e64 s14, 3, v117
	v_and_b32_e32 v121, 7, v87
	v_lshrrev_b32_e32 v119, 2, v119
	v_cmp_lt_i32_e64 s17, 5, v120
	s_wait_alu 0xfffd
	v_cndmask_b32_e32 v96, v139, v96, vcc_lo
	v_cmp_lt_i32_e32 vcc_lo, 5, v109
	v_and_b32_e32 v109, 7, v82
	v_cmp_eq_u32_e64 s18, 3, v120
	v_lshrrev_b32_e32 v85, 2, v85
	v_cmp_lt_i32_e64 s19, 5, v121
	s_or_b32 vcc_lo, s0, vcc_lo
	v_cmp_eq_u32_e64 s20, 3, v121
	s_wait_alu 0xfffe
	v_add_co_ci_u32_e32 v84, vcc_lo, 0, v84, vcc_lo
	s_or_b32 vcc_lo, s2, s1
	v_cmp_lt_i32_e64 s21, 5, v109
	s_wait_alu 0xfffe
	v_add_co_ci_u32_e32 v105, vcc_lo, 0, v105, vcc_lo
	s_or_b32 vcc_lo, s4, s3
	v_cmp_eq_u32_e64 s22, 3, v109
	s_wait_alu 0xfffe
	v_add_co_ci_u32_e32 v108, vcc_lo, 0, v108, vcc_lo
	s_or_b32 vcc_lo, s6, s5
	v_lshrrev_b32_e32 v87, 2, v87
	s_wait_alu 0xfffe
	v_add_co_ci_u32_e32 v89, vcc_lo, 0, v89, vcc_lo
	s_or_b32 vcc_lo, s8, s7
	v_lshrrev_b32_e32 v82, 2, v82
	s_wait_alu 0xfffe
	v_add_co_ci_u32_e32 v91, vcc_lo, 0, v91, vcc_lo
	s_or_b32 vcc_lo, s10, s9
	v_and_b32_e32 v110, 7, v102
	s_wait_alu 0xfffe
	v_add_co_ci_u32_e32 v94, vcc_lo, 0, v94, vcc_lo
	s_or_b32 vcc_lo, s12, s11
	v_lshrrev_b32_e32 v102, 2, v102
	s_wait_alu 0xfffe
	v_add_co_ci_u32_e32 v97, vcc_lo, 0, v97, vcc_lo
	s_or_b32 vcc_lo, s14, s13
	v_cmp_lt_i32_e64 s23, 5, v110
	s_wait_alu 0xfffe
	v_add_co_ci_u32_e32 v109, vcc_lo, 0, v119, vcc_lo
	s_or_b32 vcc_lo, s18, s17
	v_cmp_eq_u32_e64 s24, 3, v110
	s_wait_alu 0xfffe
	v_add_co_ci_u32_e32 v85, vcc_lo, 0, v85, vcc_lo
	s_or_b32 vcc_lo, s20, s19
	v_and_b32_e32 v111, 7, v88
	s_wait_alu 0xfffe
	v_add_co_ci_u32_e32 v87, vcc_lo, 0, v87, vcc_lo
	v_cmp_gt_i32_e32 vcc_lo, 31, v56
	v_lshrrev_b32_e32 v88, 2, v88
	v_cmp_lt_i32_e64 s25, 5, v111
	v_cmp_eq_u32_e64 s26, 3, v111
	v_and_b32_e32 v113, 7, v104
	s_wait_alu 0xfffd
	v_cndmask_b32_e32 v83, 0x7c00, v83, vcc_lo
	s_or_b32 vcc_lo, s22, s21
	v_and_b32_e32 v114, 7, v106
	s_wait_alu 0xfffe
	v_add_co_ci_u32_e32 v82, vcc_lo, 0, v82, vcc_lo
	v_cmp_gt_i32_e32 vcc_lo, 31, v64
	v_cmp_lt_i32_e64 s27, 5, v113
	v_cmp_eq_u32_e64 s28, 3, v113
	v_and_b32_e32 v115, 7, v107
	v_lshrrev_b32_e32 v104, 2, v104
	s_wait_alu 0xfffd
	v_cndmask_b32_e32 v84, 0x7c00, v84, vcc_lo
	s_or_b32 vcc_lo, s24, s23
	v_cmp_lt_i32_e64 s29, 5, v114
	s_wait_alu 0xfffe
	v_add_co_ci_u32_e32 v102, vcc_lo, 0, v102, vcc_lo
	v_cmp_gt_i32_e32 vcc_lo, 31, v63
	v_cmp_eq_u32_e64 s30, 3, v114
	v_and_b32_e32 v116, 7, v99
	v_lshrrev_b32_e32 v106, 2, v106
	v_cmp_lt_i32_e64 s31, 5, v115
	s_wait_alu 0xfffd
	v_cndmask_b32_e32 v105, 0x7c00, v105, vcc_lo
	s_or_b32 vcc_lo, s26, s25
	v_cmp_eq_u32_e64 s33, 3, v115
	s_wait_alu 0xfffe
	v_add_co_ci_u32_e32 v88, vcc_lo, 0, v88, vcc_lo
	v_cmp_gt_i32_e32 vcc_lo, 31, v62
	v_and_b32_e32 v117, 7, v92
	v_lshrrev_b32_e32 v107, 2, v107
	v_cmp_lt_i32_e64 s34, 5, v116
	v_cmp_eq_u32_e64 s35, 3, v116
	s_wait_alu 0xfffd
	v_cndmask_b32_e32 v108, 0x7c00, v108, vcc_lo
	v_cmp_gt_i32_e32 vcc_lo, 31, v61
	v_and_b32_e32 v118, 7, v103
	v_lshrrev_b32_e32 v99, 2, v99
	v_cmp_lt_i32_e64 s36, 5, v117
	v_cmp_eq_u32_e64 s37, 3, v117
	s_wait_alu 0xfffd
	v_cndmask_b32_e32 v89, 0x7c00, v89, vcc_lo
	;; [unrolled: 7-line block ×5, first 2 shown]
	v_cmp_gt_i32_e32 vcc_lo, 31, v57
	v_lshrrev_b32_e32 v86, 2, v86
	v_cmp_lt_i32_e64 s44, 5, v123
	v_cmp_eq_u32_e64 s45, 3, v123
	v_lshrrev_b32_e32 v96, 2, v96
	s_wait_alu 0xfffd
	v_cndmask_b32_e32 v109, 0x7c00, v109, vcc_lo
	v_cmp_gt_i32_e32 vcc_lo, 31, v55
	s_wait_alu 0xfffd
	v_cndmask_b32_e32 v85, 0x7c00, v85, vcc_lo
	v_cmp_gt_i32_e32 vcc_lo, 31, v54
	s_wait_alu 0xfffd
	v_cndmask_b32_e32 v87, 0x7c00, v87, vcc_lo
	s_or_b32 vcc_lo, s28, s27
	s_wait_alu 0xfffe
	v_add_co_ci_u32_e32 v104, vcc_lo, 0, v104, vcc_lo
	s_or_b32 vcc_lo, s30, s29
	s_wait_alu 0xfffe
	v_add_co_ci_u32_e32 v106, vcc_lo, 0, v106, vcc_lo
	;; [unrolled: 3-line block ×9, first 2 shown]
	v_cmp_gt_i32_e32 vcc_lo, 31, v78
	s_wait_alu 0xfffd
	v_cndmask_b32_e32 v82, 0x7c00, v82, vcc_lo
	v_cmp_eq_u32_e32 vcc_lo, 0x40f, v64
	s_wait_alu 0xfffd
	v_cndmask_b32_e32 v64, v84, v98, vcc_lo
	v_cmp_gt_i32_e32 vcc_lo, 31, v75
	s_delay_alu instid0(VALU_DEP_2)
	v_and_or_b32 v41, 0x8000, v41, v64
	s_wait_alu 0xfffd
	v_cndmask_b32_e32 v84, 0x7c00, v102, vcc_lo
	v_cmp_eq_u32_e32 vcc_lo, 0x40f, v63
	s_wait_alu 0xfffd
	v_cndmask_b32_e32 v63, v105, v122, vcc_lo
	v_cmp_gt_i32_e32 vcc_lo, 31, v76
	s_delay_alu instid0(VALU_DEP_2)
	v_and_or_b32 v40, 0x8000, v40, v63
	s_wait_alu 0xfffd
	v_cndmask_b32_e32 v88, 0x7c00, v88, vcc_lo
	v_cmp_eq_u32_e32 vcc_lo, 0x40f, v62
	s_wait_alu 0xfffd
	v_cndmask_b32_e32 v62, v108, v127, vcc_lo
	v_cmp_eq_u32_e32 vcc_lo, 0x40f, v61
	s_delay_alu instid0(VALU_DEP_2) | instskip(SKIP_3) | instid1(VALU_DEP_2)
	v_and_or_b32 v39, 0x8000, v39, v62
	s_wait_alu 0xfffd
	v_cndmask_b32_e32 v61, v89, v128, vcc_lo
	v_cmp_eq_u32_e32 vcc_lo, 0x40f, v60
	v_and_or_b32 v38, 0x8000, v38, v61
	s_wait_alu 0xfffd
	v_cndmask_b32_e32 v60, v91, v129, vcc_lo
	v_cmp_eq_u32_e32 vcc_lo, 0x40f, v59
	s_delay_alu instid0(VALU_DEP_2) | instskip(SKIP_3) | instid1(VALU_DEP_2)
	v_and_or_b32 v37, 0x8000, v37, v60
	s_wait_alu 0xfffd
	v_cndmask_b32_e32 v59, v94, v132, vcc_lo
	v_cmp_eq_u32_e32 vcc_lo, 0x40f, v58
	v_and_or_b32 v36, 0x8000, v36, v59
	;; [unrolled: 9-line block ×4, first 2 shown]
	s_wait_alu 0xfffd
	v_cndmask_b32_e32 v54, v87, v144, vcc_lo
	v_cmp_gt_i32_e32 vcc_lo, 31, v73
	s_delay_alu instid0(VALU_DEP_2)
	v_and_or_b32 v23, 0x8000, v23, v54
	s_wait_alu 0xfffd
	v_cndmask_b32_e32 v83, 0x7c00, v104, vcc_lo
	v_cmp_gt_i32_e32 vcc_lo, 31, v77
	s_wait_alu 0xfffd
	v_cndmask_b32_e32 v85, 0x7c00, v106, vcc_lo
	v_cmp_gt_i32_e32 vcc_lo, 31, v74
	;; [unrolled: 3-line block ×7, first 2 shown]
	s_wait_alu 0xfffd
	v_cndmask_b32_e32 v86, 0x7c00, v86, vcc_lo
	v_cmp_eq_u32_e32 vcc_lo, 0x40f, v78
	s_wait_alu 0xfffd
	v_cndmask_b32_e32 v78, v82, v140, vcc_lo
	v_cmp_eq_u32_e32 vcc_lo, 0x40f, v75
	s_delay_alu instid0(VALU_DEP_2) | instskip(SKIP_3) | instid1(VALU_DEP_3)
	v_and_or_b32 v42, 0x8000, v42, v78
	s_wait_alu 0xfffd
	v_cndmask_b32_e32 v64, v84, v100, vcc_lo
	v_cmp_eq_u32_e32 vcc_lo, 0x40f, v76
	v_and_b32_e32 v42, 0xffff, v42
	s_delay_alu instid0(VALU_DEP_3)
	v_and_or_b32 v45, 0x8000, v45, v64
	s_wait_alu 0xfffd
	v_cndmask_b32_e32 v63, v88, v142, vcc_lo
	v_cmp_eq_u32_e32 vcc_lo, 0x40f, v73
	v_lshl_or_b32 v41, v41, 16, v42
	v_and_b32_e32 v45, 0xffff, v45
	s_delay_alu instid0(VALU_DEP_4)
	v_and_or_b32 v46, 0x8000, v46, v63
	s_wait_alu 0xfffd
	v_cndmask_b32_e32 v62, v83, v143, vcc_lo
	v_cmp_eq_u32_e32 vcc_lo, 0x40f, v77
	v_lshl_or_b32 v40, v40, 16, v45
	v_and_b32_e32 v46, 0xffff, v46
	s_delay_alu instid0(VALU_DEP_4)
	;; [unrolled: 7-line block ×7, first 2 shown]
	v_and_or_b32 v51, 0x8000, v51, v57
	s_wait_alu 0xfffd
	v_cndmask_b32_e32 v56, v92, v125, vcc_lo
	v_cmp_eq_u32_e32 vcc_lo, 0x40f, v69
	v_lshl_or_b32 v34, v34, 16, v50
	s_clause 0x5
	global_store_b32 v[25:26], v41, off
	global_store_b32 v[27:28], v40, off
	;; [unrolled: 1-line block ×8, first 2 shown]
	v_cvt_f64_f32_e32 v[0:1], v22
	s_wait_alu 0xfffd
	v_cndmask_b32_e32 v55, v86, v126, vcc_lo
	v_lshlrev_b32_e32 v3, v67, v81
	v_cmp_ne_u32_e32 vcc_lo, 0, v10
	v_mul_f16_e32 v2, v44, v12
	v_add_nc_u32_e32 v10, 0xfffffc10, v13
	v_lshrrev_b32_e32 v5, 8, v11
	v_bfe_u32 v8, v11, 20, 11
	s_wait_alu 0xfffd
	v_cndmask_b32_e64 v4, 0, 1, vcc_lo
	v_cmp_ne_u32_e32 vcc_lo, v3, v80
	v_fma_f16 v2, v43, v21, -v2
	v_and_b32_e32 v51, 0xffff, v51
	v_sub_nc_u32_e32 v17, 0x3f1, v8
	v_and_or_b32 v13, 0xffe, v5, v4
	s_wait_alu 0xfffd
	v_cndmask_b32_e64 v9, 0, 1, vcc_lo
	v_cmp_ne_u32_e32 vcc_lo, 0, v79
	v_cvt_f32_f16_e32 v12, v2
	v_mul_f64_e32 v[2:3], s[50:51], v[19:20]
	v_lshl_or_b32 v19, v10, 12, v66
	v_or_b32_e32 v9, v81, v9
	s_wait_alu 0xfffd
	v_cndmask_b32_e64 v20, 0, 1, vcc_lo
	v_cmp_gt_i32_e32 vcc_lo, 1, v10
	v_cvt_f64_f32_e32 v[4:5], v12
	v_lshl_or_b32 v33, v33, 16, v51
	v_or_b32_e32 v12, 0x1000, v13
	v_med3_i32 v17, v17, 0, 13
	s_wait_alu 0xfffd
	v_cndmask_b32_e32 v9, v19, v9, vcc_lo
	v_cmp_gt_i32_e32 vcc_lo, 31, v65
	v_lshl_or_b32 v20, v20, 9, 0x7c00
	global_store_b32 v[15:16], v33, off
	v_lshrrev_b32_e32 v22, v17, v12
	s_wait_alu 0xfffd
	v_dual_cndmask_b32 v19, 0x7c00, v96 :: v_dual_and_b32 v16, 7, v9
	v_cmp_eq_u32_e32 vcc_lo, 0x40f, v65
	v_lshrrev_b32_e32 v9, 2, v9
	v_lshlrev_b32_e32 v15, v17, v22
	s_delay_alu instid0(VALU_DEP_4)
	v_cmp_eq_u32_e64 s0, 3, v16
	v_and_or_b32 v53, 0x8000, v53, v55
	s_wait_alu 0xfffd
	v_cndmask_b32_e32 v19, v19, v20, vcc_lo
	v_cmp_lt_i32_e32 vcc_lo, 5, v16
	v_mul_f64_e32 v[0:1], s[50:51], v[0:1]
	v_cmp_ne_u32_e64 s1, v15, v12
	v_add_nc_u32_e32 v15, 0xfffffc10, v8
	v_and_b32_e32 v21, 0xffff, v53
	s_or_b32 vcc_lo, s0, vcc_lo
	v_and_or_b32 v18, 0x8000, v18, v19
	s_wait_alu 0xfffe
	v_add_co_ci_u32_e32 v8, vcc_lo, 0, v9, vcc_lo
	v_cmp_ne_u32_e32 vcc_lo, 0, v66
	v_cndmask_b32_e64 v12, 0, 1, s1
	v_lshl_or_b32 v17, v23, 16, v21
	v_lshl_or_b32 v16, v15, 12, v13
	v_lshrrev_b32_e32 v11, 16, v11
	s_wait_alu 0xfffd
	v_cndmask_b32_e64 v9, 0, 1, vcc_lo
	v_cmp_gt_i32_e32 vcc_lo, 31, v10
	v_or_b32_e32 v12, v22, v12
	v_and_or_b32 v2, 0x1ff, v3, v2
	v_bfe_u32 v22, v3, 20, 11
	v_lshl_or_b32 v21, v9, 9, 0x7c00
	s_wait_alu 0xfffd
	v_cndmask_b32_e32 v20, 0x7c00, v8, vcc_lo
	v_add_co_u32 v8, vcc_lo, v6, s48
	s_wait_alu 0xfffd
	v_add_co_ci_u32_e32 v9, vcc_lo, s49, v7, vcc_lo
	v_cmp_gt_i32_e32 vcc_lo, 1, v15
	v_mul_f64_e32 v[4:5], s[50:51], v[4:5]
	v_and_or_b32 v52, 0x8000, v52, v56
	v_and_b32_e32 v18, 0xffff, v18
	s_wait_alu 0xfffd
	v_cndmask_b32_e32 v12, v16, v12, vcc_lo
	v_cmp_ne_u32_e32 vcc_lo, 0, v2
	v_lshrrev_b32_e32 v16, 8, v3
	v_lshrrev_b32_e32 v3, 16, v3
	v_and_b32_e32 v52, 0xffff, v52
	s_wait_alu 0xfffd
	v_cndmask_b32_e64 v2, 0, 1, vcc_lo
	v_cmp_eq_u32_e32 vcc_lo, 0x40f, v10
	v_and_or_b32 v0, 0x1ff, v1, v0
	v_lshl_or_b32 v24, v24, 16, v52
	s_delay_alu instid0(VALU_DEP_4)
	v_and_or_b32 v2, 0xffe, v16, v2
	s_wait_alu 0xfffd
	v_cndmask_b32_e32 v10, v20, v21, vcc_lo
	v_and_b32_e32 v20, 7, v12
	v_sub_nc_u32_e32 v16, 0x3f1, v22
	v_lshrrev_b32_e32 v12, 2, v12
	v_bfe_u32 v21, v1, 20, 11
	v_and_or_b32 v10, 0x8000, v14, v10
	v_cmp_lt_i32_e32 vcc_lo, 5, v20
	v_cmp_eq_u32_e64 s0, 3, v20
	v_or_b32_e32 v14, 0x1000, v2
	v_med3_i32 v16, v16, 0, 13
	v_lshrrev_b32_e32 v20, 8, v1
	v_lshrrev_b32_e32 v1, 16, v1
	s_or_b32 vcc_lo, s0, vcc_lo
	v_lshl_or_b32 v10, v10, 16, v18
	s_wait_alu 0xfffe
	v_add_co_ci_u32_e32 v12, vcc_lo, 0, v12, vcc_lo
	v_lshrrev_b32_e32 v19, v16, v14
	v_cmp_ne_u32_e32 vcc_lo, 0, v0
	s_delay_alu instid0(VALU_DEP_2)
	v_lshlrev_b32_e32 v16, v16, v19
	s_wait_alu 0xfffd
	v_cndmask_b32_e64 v0, 0, 1, vcc_lo
	v_cmp_ne_u32_e32 vcc_lo, 0, v13
	v_and_or_b32 v4, 0x1ff, v5, v4
	v_lshrrev_b32_e32 v23, 8, v5
	v_bfe_u32 v25, v5, 20, 11
	v_and_or_b32 v0, 0xffe, v20, v0
	s_wait_alu 0xfffd
	v_cndmask_b32_e64 v13, 0, 1, vcc_lo
	v_cmp_ne_u32_e32 vcc_lo, v16, v14
	v_sub_nc_u32_e32 v20, 0x3f1, v21
	v_add_nc_u32_e32 v16, 0xfffffc10, v22
	v_or_b32_e32 v22, 0x1000, v0
	v_lshl_or_b32 v13, v13, 9, 0x7c00
	s_wait_alu 0xfffd
	v_cndmask_b32_e64 v14, 0, 1, vcc_lo
	v_cmp_gt_i32_e32 vcc_lo, 31, v15
	v_med3_i32 v20, v20, 0, 13
	v_lshrrev_b32_e32 v5, 16, v5
	s_delay_alu instid0(VALU_DEP_4)
	v_or_b32_e32 v14, v19, v14
	s_wait_alu 0xfffd
	v_cndmask_b32_e32 v12, 0x7c00, v12, vcc_lo
	v_cmp_ne_u32_e32 vcc_lo, 0, v4
	v_lshl_or_b32 v19, v16, 12, v2
	v_lshrrev_b32_e32 v26, v20, v22
	s_wait_alu 0xfffd
	v_cndmask_b32_e64 v4, 0, 1, vcc_lo
	v_cmp_gt_i32_e32 vcc_lo, 1, v16
	s_delay_alu instid0(VALU_DEP_2)
	v_and_or_b32 v4, 0xffe, v23, v4
	v_sub_nc_u32_e32 v23, 0x3f1, v25
	s_wait_alu 0xfffd
	v_cndmask_b32_e32 v14, v19, v14, vcc_lo
	v_lshlrev_b32_e32 v19, v20, v26
	v_cmp_eq_u32_e32 vcc_lo, 0x40f, v15
	v_or_b32_e32 v20, 0x1000, v4
	v_med3_i32 v23, v23, 0, 13
	v_add_nc_u32_e32 v15, 0xfffffc10, v21
	s_wait_alu 0xfffd
	v_dual_cndmask_b32 v12, v12, v13 :: v_dual_and_b32 v27, 7, v14
	v_cmp_ne_u32_e32 vcc_lo, v19, v22
	v_lshrrev_b32_e32 v19, v23, v20
	v_lshl_or_b32 v21, v15, 12, v0
	v_cmp_gt_i32_e64 s1, 1, v15
	v_cmp_eq_u32_e64 s0, 3, v27
	s_wait_alu 0xfffd
	v_cndmask_b32_e64 v13, 0, 1, vcc_lo
	v_lshlrev_b32_e32 v22, v23, v19
	v_cmp_lt_i32_e32 vcc_lo, 5, v27
	v_lshrrev_b32_e32 v14, 2, v14
	v_and_or_b32 v11, 0x8000, v11, v12
	v_or_b32_e32 v13, v26, v13
	s_or_b32 vcc_lo, s0, vcc_lo
	s_wait_alu 0xfffe
	v_add_co_ci_u32_e32 v14, vcc_lo, 0, v14, vcc_lo
	s_delay_alu instid0(VALU_DEP_2) | instskip(SKIP_3) | instid1(VALU_DEP_4)
	v_cndmask_b32_e64 v13, v21, v13, s1
	v_cmp_ne_u32_e64 s1, v22, v20
	v_add_nc_u32_e32 v21, 0xfffffc10, v25
	v_cmp_ne_u32_e32 vcc_lo, 0, v2
	v_and_b32_e32 v22, 7, v13
	s_wait_alu 0xf1ff
	v_cndmask_b32_e64 v20, 0, 1, s1
	v_cmp_gt_i32_e64 s0, 1, v21
	s_wait_alu 0xfffd
	v_cndmask_b32_e64 v2, 0, 1, vcc_lo
	v_lshrrev_b32_e32 v13, 2, v13
	v_cmp_lt_i32_e32 vcc_lo, 5, v22
	v_or_b32_e32 v19, v19, v20
	v_lshl_or_b32 v20, v21, 12, v4
	v_cmp_gt_i32_e64 s1, 31, v16
	v_lshl_or_b32 v2, v2, 9, 0x7c00
	s_wait_alu 0xf1ff
	s_delay_alu instid0(VALU_DEP_3) | instskip(SKIP_3) | instid1(VALU_DEP_4)
	v_cndmask_b32_e64 v12, v20, v19, s0
	v_cmp_eq_u32_e64 s0, 3, v22
	v_cndmask_b32_e64 v14, 0x7c00, v14, s1
	v_cmp_eq_u32_e64 s1, 0x40f, v16
	v_and_b32_e32 v19, 7, v12
	s_delay_alu instid0(VALU_DEP_4)
	s_or_b32 vcc_lo, s0, vcc_lo
	v_lshrrev_b32_e32 v12, 2, v12
	s_wait_alu 0xfffe
	v_add_co_ci_u32_e32 v13, vcc_lo, 0, v13, vcc_lo
	v_cmp_ne_u32_e32 vcc_lo, 0, v0
	v_cmp_eq_u32_e64 s0, 3, v19
	v_cndmask_b32_e64 v2, v14, v2, s1
	v_cmp_gt_i32_e64 s1, 31, v15
	s_wait_alu 0xfffd
	v_cndmask_b32_e64 v0, 0, 1, vcc_lo
	v_cmp_lt_i32_e32 vcc_lo, 5, v19
	v_and_or_b32 v2, 0x8000, v3, v2
	s_wait_alu 0xf1ff
	v_cndmask_b32_e64 v13, 0x7c00, v13, s1
	v_and_b32_e32 v3, 0xffff, v11
	v_lshl_or_b32 v0, v0, 9, 0x7c00
	s_or_b32 vcc_lo, s0, vcc_lo
	s_wait_alu 0xfffe
	v_add_co_ci_u32_e32 v12, vcc_lo, 0, v12, vcc_lo
	v_cmp_ne_u32_e32 vcc_lo, 0, v4
	s_wait_alu 0xfffd
	v_cndmask_b32_e64 v4, 0, 1, vcc_lo
	v_cmp_eq_u32_e32 vcc_lo, 0x40f, v15
	s_delay_alu instid0(VALU_DEP_2) | instskip(SKIP_3) | instid1(VALU_DEP_2)
	v_lshl_or_b32 v4, v4, 9, 0x7c00
	s_wait_alu 0xfffd
	v_cndmask_b32_e32 v0, v13, v0, vcc_lo
	v_cmp_gt_i32_e32 vcc_lo, 31, v21
	v_and_or_b32 v11, 0x8000, v1, v0
	s_wait_alu 0xfffd
	v_cndmask_b32_e32 v12, 0x7c00, v12, vcc_lo
	v_cmp_eq_u32_e32 vcc_lo, 0x40f, v21
	s_wait_alu 0xfffd
	s_delay_alu instid0(VALU_DEP_2)
	v_cndmask_b32_e32 v4, v12, v4, vcc_lo
	v_add_co_u32 v0, vcc_lo, v8, s46
	s_wait_alu 0xfffd
	v_add_co_ci_u32_e32 v1, vcc_lo, s47, v9, vcc_lo
	v_lshl_or_b32 v12, v2, 16, v3
	v_and_or_b32 v4, 0x8000, v5, v4
	v_and_b32_e32 v5, 0xffff, v11
	v_add_co_u32 v2, vcc_lo, v0, s48
	s_wait_alu 0xfffd
	v_add_co_ci_u32_e32 v3, vcc_lo, s49, v1, vcc_lo
	s_delay_alu instid0(VALU_DEP_3) | instskip(NEXT) | instid1(VALU_DEP_3)
	v_lshl_or_b32 v11, v4, 16, v5
	v_add_co_u32 v4, vcc_lo, v2, s46
	s_wait_alu 0xfffd
	s_delay_alu instid0(VALU_DEP_3)
	v_add_co_ci_u32_e32 v5, vcc_lo, s47, v3, vcc_lo
	global_store_b32 v[6:7], v24, off
	global_store_b32 v[8:9], v17, off
	;; [unrolled: 1-line block ×5, first 2 shown]
.LBB0_2:
	s_nop 0
	s_sendmsg sendmsg(MSG_DEALLOC_VGPRS)
	s_endpgm
	.section	.rodata,"a",@progbits
	.p2align	6, 0x0
	.amdhsa_kernel bluestein_single_fwd_len784_dim1_half_op_CI_CI
		.amdhsa_group_segment_fixed_size 3136
		.amdhsa_private_segment_fixed_size 0
		.amdhsa_kernarg_size 104
		.amdhsa_user_sgpr_count 2
		.amdhsa_user_sgpr_dispatch_ptr 0
		.amdhsa_user_sgpr_queue_ptr 0
		.amdhsa_user_sgpr_kernarg_segment_ptr 1
		.amdhsa_user_sgpr_dispatch_id 0
		.amdhsa_user_sgpr_private_segment_size 0
		.amdhsa_wavefront_size32 1
		.amdhsa_uses_dynamic_stack 0
		.amdhsa_enable_private_segment 0
		.amdhsa_system_sgpr_workgroup_id_x 1
		.amdhsa_system_sgpr_workgroup_id_y 0
		.amdhsa_system_sgpr_workgroup_id_z 0
		.amdhsa_system_sgpr_workgroup_info 0
		.amdhsa_system_vgpr_workitem_id 0
		.amdhsa_next_free_vgpr 163
		.amdhsa_next_free_sgpr 52
		.amdhsa_reserve_vcc 1
		.amdhsa_float_round_mode_32 0
		.amdhsa_float_round_mode_16_64 0
		.amdhsa_float_denorm_mode_32 3
		.amdhsa_float_denorm_mode_16_64 3
		.amdhsa_fp16_overflow 0
		.amdhsa_workgroup_processor_mode 1
		.amdhsa_memory_ordered 1
		.amdhsa_forward_progress 0
		.amdhsa_round_robin_scheduling 0
		.amdhsa_exception_fp_ieee_invalid_op 0
		.amdhsa_exception_fp_denorm_src 0
		.amdhsa_exception_fp_ieee_div_zero 0
		.amdhsa_exception_fp_ieee_overflow 0
		.amdhsa_exception_fp_ieee_underflow 0
		.amdhsa_exception_fp_ieee_inexact 0
		.amdhsa_exception_int_div_zero 0
	.end_amdhsa_kernel
	.text
.Lfunc_end0:
	.size	bluestein_single_fwd_len784_dim1_half_op_CI_CI, .Lfunc_end0-bluestein_single_fwd_len784_dim1_half_op_CI_CI
                                        ; -- End function
	.section	.AMDGPU.csdata,"",@progbits
; Kernel info:
; codeLenInByte = 23752
; NumSgprs: 54
; NumVgprs: 163
; ScratchSize: 0
; MemoryBound: 0
; FloatMode: 240
; IeeeMode: 1
; LDSByteSize: 3136 bytes/workgroup (compile time only)
; SGPRBlocks: 6
; VGPRBlocks: 20
; NumSGPRsForWavesPerEU: 54
; NumVGPRsForWavesPerEU: 163
; Occupancy: 9
; WaveLimiterHint : 1
; COMPUTE_PGM_RSRC2:SCRATCH_EN: 0
; COMPUTE_PGM_RSRC2:USER_SGPR: 2
; COMPUTE_PGM_RSRC2:TRAP_HANDLER: 0
; COMPUTE_PGM_RSRC2:TGID_X_EN: 1
; COMPUTE_PGM_RSRC2:TGID_Y_EN: 0
; COMPUTE_PGM_RSRC2:TGID_Z_EN: 0
; COMPUTE_PGM_RSRC2:TIDIG_COMP_CNT: 0
	.text
	.p2alignl 7, 3214868480
	.fill 96, 4, 3214868480
	.type	__hip_cuid_9d785645c0a70111,@object ; @__hip_cuid_9d785645c0a70111
	.section	.bss,"aw",@nobits
	.globl	__hip_cuid_9d785645c0a70111
__hip_cuid_9d785645c0a70111:
	.byte	0                               ; 0x0
	.size	__hip_cuid_9d785645c0a70111, 1

	.ident	"AMD clang version 19.0.0git (https://github.com/RadeonOpenCompute/llvm-project roc-6.4.0 25133 c7fe45cf4b819c5991fe208aaa96edf142730f1d)"
	.section	".note.GNU-stack","",@progbits
	.addrsig
	.addrsig_sym __hip_cuid_9d785645c0a70111
	.amdgpu_metadata
---
amdhsa.kernels:
  - .args:
      - .actual_access:  read_only
        .address_space:  global
        .offset:         0
        .size:           8
        .value_kind:     global_buffer
      - .actual_access:  read_only
        .address_space:  global
        .offset:         8
        .size:           8
        .value_kind:     global_buffer
      - .actual_access:  read_only
        .address_space:  global
        .offset:         16
        .size:           8
        .value_kind:     global_buffer
      - .actual_access:  read_only
        .address_space:  global
        .offset:         24
        .size:           8
        .value_kind:     global_buffer
      - .actual_access:  read_only
        .address_space:  global
        .offset:         32
        .size:           8
        .value_kind:     global_buffer
      - .offset:         40
        .size:           8
        .value_kind:     by_value
      - .address_space:  global
        .offset:         48
        .size:           8
        .value_kind:     global_buffer
      - .address_space:  global
        .offset:         56
        .size:           8
        .value_kind:     global_buffer
      - .address_space:  global
        .offset:         64
        .size:           8
        .value_kind:     global_buffer
      - .address_space:  global
        .offset:         72
        .size:           8
        .value_kind:     global_buffer
      - .offset:         80
        .size:           4
        .value_kind:     by_value
      - .address_space:  global
        .offset:         88
        .size:           8
        .value_kind:     global_buffer
      - .address_space:  global
        .offset:         96
        .size:           8
        .value_kind:     global_buffer
    .group_segment_fixed_size: 3136
    .kernarg_segment_align: 8
    .kernarg_segment_size: 104
    .language:       OpenCL C
    .language_version:
      - 2
      - 0
    .max_flat_workgroup_size: 56
    .name:           bluestein_single_fwd_len784_dim1_half_op_CI_CI
    .private_segment_fixed_size: 0
    .sgpr_count:     54
    .sgpr_spill_count: 0
    .symbol:         bluestein_single_fwd_len784_dim1_half_op_CI_CI.kd
    .uniform_work_group_size: 1
    .uses_dynamic_stack: false
    .vgpr_count:     163
    .vgpr_spill_count: 0
    .wavefront_size: 32
    .workgroup_processor_mode: 1
amdhsa.target:   amdgcn-amd-amdhsa--gfx1201
amdhsa.version:
  - 1
  - 2
...

	.end_amdgpu_metadata
